;; amdgpu-corpus repo=ROCm/rocFFT kind=compiled arch=gfx950 opt=O3
	.text
	.amdgcn_target "amdgcn-amd-amdhsa--gfx950"
	.amdhsa_code_object_version 6
	.protected	fft_rtc_fwd_len1638_factors_13_2_3_7_3_wgs_182_tpt_182_halfLds_dp_ip_CI_unitstride_sbrr_dirReg ; -- Begin function fft_rtc_fwd_len1638_factors_13_2_3_7_3_wgs_182_tpt_182_halfLds_dp_ip_CI_unitstride_sbrr_dirReg
	.globl	fft_rtc_fwd_len1638_factors_13_2_3_7_3_wgs_182_tpt_182_halfLds_dp_ip_CI_unitstride_sbrr_dirReg
	.p2align	8
	.type	fft_rtc_fwd_len1638_factors_13_2_3_7_3_wgs_182_tpt_182_halfLds_dp_ip_CI_unitstride_sbrr_dirReg,@function
fft_rtc_fwd_len1638_factors_13_2_3_7_3_wgs_182_tpt_182_halfLds_dp_ip_CI_unitstride_sbrr_dirReg: ; @fft_rtc_fwd_len1638_factors_13_2_3_7_3_wgs_182_tpt_182_halfLds_dp_ip_CI_unitstride_sbrr_dirReg
; %bb.0:
	s_load_dwordx2 s[8:9], s[0:1], 0x50
	s_load_dwordx4 s[4:7], s[0:1], 0x0
	s_load_dwordx2 s[10:11], s[0:1], 0x18
	v_mul_u32_u24_e32 v1, 0x169, v0
	v_add_u32_sdwa v6, s2, v1 dst_sel:DWORD dst_unused:UNUSED_PAD src0_sel:DWORD src1_sel:WORD_1
	v_mov_b32_e32 v4, 0
	s_waitcnt lgkmcnt(0)
	v_cmp_lt_u64_e64 s[2:3], s[6:7], 2
	v_mov_b32_e32 v7, v4
	s_and_b64 vcc, exec, s[2:3]
	v_mov_b64_e32 v[2:3], 0
	s_cbranch_vccnz .LBB0_8
; %bb.1:
	s_load_dwordx2 s[2:3], s[0:1], 0x10
	s_add_u32 s12, s10, 8
	s_addc_u32 s13, s11, 0
	s_mov_b64 s[14:15], 1
	v_mov_b64_e32 v[2:3], 0
	s_waitcnt lgkmcnt(0)
	s_add_u32 s16, s2, 8
	s_addc_u32 s17, s3, 0
.LBB0_2:                                ; =>This Inner Loop Header: Depth=1
	s_load_dwordx2 s[18:19], s[16:17], 0x0
                                        ; implicit-def: $vgpr8_vgpr9
	s_waitcnt lgkmcnt(0)
	v_or_b32_e32 v5, s19, v7
	v_cmp_ne_u64_e32 vcc, 0, v[4:5]
	s_and_saveexec_b64 s[2:3], vcc
	s_xor_b64 s[20:21], exec, s[2:3]
	s_cbranch_execz .LBB0_4
; %bb.3:                                ;   in Loop: Header=BB0_2 Depth=1
	v_cvt_f32_u32_e32 v1, s18
	v_cvt_f32_u32_e32 v5, s19
	s_sub_u32 s2, 0, s18
	s_subb_u32 s3, 0, s19
	v_fmac_f32_e32 v1, 0x4f800000, v5
	v_rcp_f32_e32 v1, v1
	s_nop 0
	v_mul_f32_e32 v1, 0x5f7ffffc, v1
	v_mul_f32_e32 v5, 0x2f800000, v1
	v_trunc_f32_e32 v5, v5
	v_fmac_f32_e32 v1, 0xcf800000, v5
	v_cvt_u32_f32_e32 v5, v5
	v_cvt_u32_f32_e32 v1, v1
	v_mul_lo_u32 v8, s2, v5
	v_mul_hi_u32 v10, s2, v1
	v_mul_lo_u32 v9, s3, v1
	v_add_u32_e32 v10, v10, v8
	v_mul_lo_u32 v12, s2, v1
	v_add_u32_e32 v13, v10, v9
	v_mul_hi_u32 v8, v1, v12
	v_mul_hi_u32 v11, v1, v13
	v_mul_lo_u32 v10, v1, v13
	v_mov_b32_e32 v9, v4
	v_lshl_add_u64 v[8:9], v[8:9], 0, v[10:11]
	v_mul_hi_u32 v11, v5, v12
	v_mul_lo_u32 v12, v5, v12
	v_add_co_u32_e32 v8, vcc, v8, v12
	v_mul_hi_u32 v10, v5, v13
	s_nop 0
	v_addc_co_u32_e32 v8, vcc, v9, v11, vcc
	v_mov_b32_e32 v9, v4
	s_nop 0
	v_addc_co_u32_e32 v11, vcc, 0, v10, vcc
	v_mul_lo_u32 v10, v5, v13
	v_lshl_add_u64 v[8:9], v[8:9], 0, v[10:11]
	v_add_co_u32_e32 v1, vcc, v1, v8
	v_mul_lo_u32 v10, s2, v1
	s_nop 0
	v_addc_co_u32_e32 v5, vcc, v5, v9, vcc
	v_mul_lo_u32 v8, s2, v5
	v_mul_hi_u32 v9, s2, v1
	v_add_u32_e32 v8, v9, v8
	v_mul_lo_u32 v9, s3, v1
	v_add_u32_e32 v12, v8, v9
	v_mul_hi_u32 v14, v5, v10
	v_mul_lo_u32 v15, v5, v10
	v_mul_hi_u32 v9, v1, v12
	v_mul_lo_u32 v8, v1, v12
	v_mul_hi_u32 v10, v1, v10
	v_mov_b32_e32 v11, v4
	v_lshl_add_u64 v[8:9], v[10:11], 0, v[8:9]
	v_add_co_u32_e32 v8, vcc, v8, v15
	v_mul_hi_u32 v13, v5, v12
	s_nop 0
	v_addc_co_u32_e32 v8, vcc, v9, v14, vcc
	v_mul_lo_u32 v10, v5, v12
	s_nop 0
	v_addc_co_u32_e32 v11, vcc, 0, v13, vcc
	v_mov_b32_e32 v9, v4
	v_lshl_add_u64 v[8:9], v[8:9], 0, v[10:11]
	v_add_co_u32_e32 v1, vcc, v1, v8
	v_mul_hi_u32 v10, v6, v1
	s_nop 0
	v_addc_co_u32_e32 v5, vcc, v5, v9, vcc
	v_mad_u64_u32 v[8:9], s[2:3], v6, v5, 0
	v_mov_b32_e32 v11, v4
	v_lshl_add_u64 v[8:9], v[10:11], 0, v[8:9]
	v_mad_u64_u32 v[12:13], s[2:3], v7, v1, 0
	v_add_co_u32_e32 v1, vcc, v8, v12
	v_mad_u64_u32 v[10:11], s[2:3], v7, v5, 0
	s_nop 0
	v_addc_co_u32_e32 v8, vcc, v9, v13, vcc
	v_mov_b32_e32 v9, v4
	s_nop 0
	v_addc_co_u32_e32 v11, vcc, 0, v11, vcc
	v_lshl_add_u64 v[8:9], v[8:9], 0, v[10:11]
	v_mul_lo_u32 v1, s19, v8
	v_mul_lo_u32 v5, s18, v9
	v_mad_u64_u32 v[10:11], s[2:3], s18, v8, 0
	v_add3_u32 v1, v11, v5, v1
	v_sub_u32_e32 v5, v7, v1
	v_mov_b32_e32 v11, s19
	v_sub_co_u32_e32 v14, vcc, v6, v10
	v_lshl_add_u64 v[12:13], v[8:9], 0, 1
	s_nop 0
	v_subb_co_u32_e64 v5, s[2:3], v5, v11, vcc
	v_subrev_co_u32_e64 v10, s[2:3], s18, v14
	v_subb_co_u32_e32 v1, vcc, v7, v1, vcc
	s_nop 0
	v_subbrev_co_u32_e64 v5, s[2:3], 0, v5, s[2:3]
	v_cmp_le_u32_e64 s[2:3], s19, v5
	v_cmp_le_u32_e32 vcc, s19, v1
	s_nop 0
	v_cndmask_b32_e64 v11, 0, -1, s[2:3]
	v_cmp_le_u32_e64 s[2:3], s18, v10
	s_nop 1
	v_cndmask_b32_e64 v10, 0, -1, s[2:3]
	v_cmp_eq_u32_e64 s[2:3], s19, v5
	s_nop 1
	v_cndmask_b32_e64 v5, v11, v10, s[2:3]
	v_lshl_add_u64 v[10:11], v[8:9], 0, 2
	v_cmp_ne_u32_e64 s[2:3], 0, v5
	s_nop 1
	v_cndmask_b32_e64 v5, v13, v11, s[2:3]
	v_cndmask_b32_e64 v11, 0, -1, vcc
	v_cmp_le_u32_e32 vcc, s18, v14
	s_nop 1
	v_cndmask_b32_e64 v13, 0, -1, vcc
	v_cmp_eq_u32_e32 vcc, s19, v1
	s_nop 1
	v_cndmask_b32_e32 v1, v11, v13, vcc
	v_cmp_ne_u32_e32 vcc, 0, v1
	v_cndmask_b32_e64 v1, v12, v10, s[2:3]
	s_nop 0
	v_cndmask_b32_e32 v9, v9, v5, vcc
	v_cndmask_b32_e32 v8, v8, v1, vcc
.LBB0_4:                                ;   in Loop: Header=BB0_2 Depth=1
	s_andn2_saveexec_b64 s[2:3], s[20:21]
	s_cbranch_execz .LBB0_6
; %bb.5:                                ;   in Loop: Header=BB0_2 Depth=1
	v_cvt_f32_u32_e32 v1, s18
	s_sub_i32 s20, 0, s18
	v_rcp_iflag_f32_e32 v1, v1
	s_nop 0
	v_mul_f32_e32 v1, 0x4f7ffffe, v1
	v_cvt_u32_f32_e32 v1, v1
	v_mul_lo_u32 v5, s20, v1
	v_mul_hi_u32 v5, v1, v5
	v_add_u32_e32 v1, v1, v5
	v_mul_hi_u32 v1, v6, v1
	v_mul_lo_u32 v5, v1, s18
	v_sub_u32_e32 v5, v6, v5
	v_add_u32_e32 v8, 1, v1
	v_subrev_u32_e32 v9, s18, v5
	v_cmp_le_u32_e32 vcc, s18, v5
	s_nop 1
	v_cndmask_b32_e32 v5, v5, v9, vcc
	v_cndmask_b32_e32 v1, v1, v8, vcc
	v_add_u32_e32 v8, 1, v1
	v_cmp_le_u32_e32 vcc, s18, v5
	v_mov_b32_e32 v9, v4
	s_nop 0
	v_cndmask_b32_e32 v8, v1, v8, vcc
.LBB0_6:                                ;   in Loop: Header=BB0_2 Depth=1
	s_or_b64 exec, exec, s[2:3]
	v_mad_u64_u32 v[10:11], s[2:3], v8, s18, 0
	s_load_dwordx2 s[2:3], s[12:13], 0x0
	v_mul_lo_u32 v1, v9, s18
	v_mul_lo_u32 v5, v8, s19
	v_add3_u32 v1, v11, v5, v1
	v_sub_co_u32_e32 v5, vcc, v6, v10
	s_add_u32 s14, s14, 1
	s_nop 0
	v_subb_co_u32_e32 v1, vcc, v7, v1, vcc
	s_addc_u32 s15, s15, 0
	s_waitcnt lgkmcnt(0)
	v_mul_lo_u32 v1, s2, v1
	v_mul_lo_u32 v6, s3, v5
	v_mad_u64_u32 v[2:3], s[2:3], s2, v5, v[2:3]
	s_add_u32 s12, s12, 8
	v_add3_u32 v3, v6, v3, v1
	s_addc_u32 s13, s13, 0
	v_mov_b64_e32 v[6:7], s[6:7]
	s_add_u32 s16, s16, 8
	v_cmp_ge_u64_e32 vcc, s[14:15], v[6:7]
	s_addc_u32 s17, s17, 0
	s_cbranch_vccnz .LBB0_9
; %bb.7:                                ;   in Loop: Header=BB0_2 Depth=1
	v_mov_b64_e32 v[6:7], v[8:9]
	s_branch .LBB0_2
.LBB0_8:
	v_mov_b64_e32 v[8:9], v[6:7]
.LBB0_9:
	s_lshl_b64 s[2:3], s[6:7], 3
	s_add_u32 s2, s10, s2
	s_addc_u32 s3, s11, s3
	s_load_dwordx2 s[6:7], s[2:3], 0x0
	s_load_dwordx2 s[10:11], s[0:1], 0x20
                                        ; implicit-def: $vgpr56_vgpr57
                                        ; implicit-def: $vgpr48_vgpr49
                                        ; implicit-def: $vgpr52_vgpr53
                                        ; implicit-def: $vgpr40_vgpr41
                                        ; implicit-def: $vgpr44_vgpr45
                                        ; implicit-def: $vgpr32_vgpr33
                                        ; implicit-def: $vgpr36_vgpr37
                                        ; implicit-def: $vgpr24_vgpr25
                                        ; implicit-def: $vgpr28_vgpr29
                                        ; implicit-def: $vgpr16_vgpr17
                                        ; implicit-def: $vgpr20_vgpr21
                                        ; implicit-def: $vgpr12_vgpr13
	s_waitcnt lgkmcnt(0)
	v_mad_u64_u32 v[2:3], s[0:1], s6, v8, v[2:3]
	v_mul_lo_u32 v1, s6, v9
	v_mul_lo_u32 v4, s7, v8
	s_mov_b32 s0, 0x1681682
	v_add3_u32 v3, v4, v3, v1
	v_mul_hi_u32 v1, v0, s0
	v_mul_u32_u24_e32 v1, 0xb6, v1
	v_sub_u32_e32 v72, v0, v1
	s_movk_i32 s0, 0x7e
	v_cmp_gt_u64_e32 vcc, s[10:11], v[8:9]
	v_cmp_gt_u32_e64 s[0:1], s0, v72
	s_and_b64 s[2:3], vcc, s[0:1]
	v_lshl_add_u64 v[70:71], v[2:3], 4, s[8:9]
                                        ; implicit-def: $vgpr8_vgpr9
	s_and_saveexec_b64 s[6:7], s[2:3]
	s_cbranch_execz .LBB0_11
; %bb.10:
	v_mov_b32_e32 v73, 0
	v_lshl_add_u64 v[0:1], v[72:73], 4, v[70:71]
	s_movk_i32 s2, 0x1000
	v_add_co_u32_e64 v2, s[2:3], s2, v0
	global_load_dwordx4 v[6:9], v[0:1], off
	global_load_dwordx4 v[10:13], v[0:1], off offset:2016
	v_addc_co_u32_e64 v3, s[2:3], 0, v1, s[2:3]
	s_movk_i32 s2, 0x2000
	s_nop 0
	v_add_co_u32_e64 v4, s[2:3], s2, v0
	global_load_dwordx4 v[18:21], v[0:1], off offset:4032
	global_load_dwordx4 v[14:17], v[2:3], off offset:1952
	v_addc_co_u32_e64 v5, s[2:3], 0, v1, s[2:3]
	s_movk_i32 s2, 0x3000
	global_load_dwordx4 v[26:29], v[2:3], off offset:3968
	global_load_dwordx4 v[22:25], v[4:5], off offset:1888
	v_add_co_u32_e64 v2, s[2:3], s2, v0
	s_nop 1
	v_addc_co_u32_e64 v3, s[2:3], 0, v1, s[2:3]
	s_movk_i32 s2, 0x4000
	global_load_dwordx4 v[34:37], v[4:5], off offset:3904
	global_load_dwordx4 v[30:33], v[2:3], off offset:1824
	v_add_co_u32_e64 v4, s[2:3], s2, v0
	s_nop 1
	v_addc_co_u32_e64 v5, s[2:3], 0, v1, s[2:3]
	s_movk_i32 s2, 0x5000
	s_nop 0
	v_add_co_u32_e64 v0, s[2:3], s2, v0
	global_load_dwordx4 v[42:45], v[2:3], off offset:3840
	global_load_dwordx4 v[38:41], v[4:5], off offset:1760
	v_addc_co_u32_e64 v1, s[2:3], 0, v1, s[2:3]
	global_load_dwordx4 v[50:53], v[4:5], off offset:3776
	global_load_dwordx4 v[46:49], v[0:1], off offset:1696
	;; [unrolled: 1-line block ×3, first 2 shown]
.LBB0_11:
	s_or_b64 exec, exec, s[6:7]
	s_mov_b32 s6, 0xe00740e9
	s_waitcnt vmcnt(0)
	v_add_f64 v[64:65], v[54:55], v[10:11]
	s_mov_b32 s7, 0x3fec55a7
	s_mov_b32 s8, 0x4267c47c
	;; [unrolled: 1-line block ×3, first 2 shown]
	v_add_f64 v[66:67], v[12:13], -v[56:57]
	v_mul_f64 v[4:5], v[64:65], s[6:7]
	s_mov_b32 s9, 0xbfddbe06
	s_mov_b32 s11, 0x3fe22d96
	;; [unrolled: 1-line block ×3, first 2 shown]
	v_add_f64 v[96:97], v[46:47], v[18:19]
	v_fma_f64 v[0:1], s[8:9], v[66:67], v[4:5]
	s_mov_b32 s3, 0xbfea55e2
	v_add_f64 v[92:93], v[20:21], -v[48:49]
	v_mul_f64 v[58:59], v[96:97], s[10:11]
	s_mov_b32 s26, 0xb2365da1
	v_add_f64 v[0:1], v[6:7], v[0:1]
	v_fma_f64 v[2:3], s[2:3], v[92:93], v[58:59]
	v_mul_f64 v[60:61], v[64:65], s[10:11]
	s_mov_b32 s27, 0xbfd6b1d8
	s_mov_b32 s18, 0x2ef20147
	v_add_f64 v[0:1], v[2:3], v[0:1]
	v_fma_f64 v[2:3], s[2:3], v[66:67], v[60:61]
	s_mov_b32 s19, 0xbfedeba7
	v_mul_f64 v[62:63], v[96:97], s[26:27]
	s_mov_b32 s34, 0xebaa3ed8
	v_add_f64 v[2:3], v[6:7], v[2:3]
	v_fma_f64 v[68:69], s[18:19], v[92:93], v[62:63]
	s_mov_b32 s35, 0x3fbedb7d
	s_mov_b32 s16, 0x66966769
	;; [unrolled: 1-line block ×3, first 2 shown]
	v_add_f64 v[2:3], v[68:69], v[2:3]
	s_mov_b32 s17, 0xbfefc445
	v_mul_f64 v[68:69], v[64:65], s[34:35]
	s_mov_b32 s29, 0xbfef11f4
	s_mov_b32 s12, 0x4bc48dbf
	v_fma_f64 v[74:75], s[16:17], v[66:67], v[68:69]
	s_mov_b32 s13, 0xbfcea1e5
	v_mul_f64 v[80:81], v[96:97], s[28:29]
	s_mov_b32 s36, 0xd0032e0c
	v_add_f64 v[74:75], v[6:7], v[74:75]
	v_fma_f64 v[76:77], s[12:13], v[92:93], v[80:81]
	v_mul_f64 v[84:85], v[64:65], s[26:27]
	s_mov_b32 s37, 0xbfe7f3cc
	s_mov_b32 s20, 0x24c2f84
	v_add_f64 v[74:75], v[76:77], v[74:75]
	v_fma_f64 v[76:77], s[18:19], v[66:67], v[84:85]
	s_mov_b32 s21, 0xbfe5384d
	s_mov_b32 s23, 0x3fe5384d
	s_mov_b32 s22, s20
	v_mul_f64 v[88:89], v[96:97], s[36:37]
	v_add_f64 v[76:77], v[6:7], v[76:77]
	v_fma_f64 v[78:79], s[22:23], v[92:93], v[88:89]
	v_mul_f64 v[102:103], v[64:65], s[36:37]
	v_add_f64 v[76:77], v[78:79], v[76:77]
	v_fma_f64 v[78:79], s[20:21], v[66:67], v[102:103]
	s_mov_b32 s25, 0x3fefc445
	s_mov_b32 s24, s16
	v_mul_f64 v[108:109], v[96:97], s[34:35]
	v_add_f64 v[78:79], v[6:7], v[78:79]
	v_fma_f64 v[82:83], s[24:25], v[92:93], v[108:109]
	v_add_f64 v[126:127], v[50:51], v[14:15]
	v_add_f64 v[78:79], v[82:83], v[78:79]
	v_add_f64 v[112:113], v[16:17], -v[52:53]
	v_mul_f64 v[82:83], v[126:127], s[34:35]
	v_fma_f64 v[86:87], s[16:17], v[112:113], v[82:83]
	v_add_f64 v[0:1], v[86:87], v[0:1]
	v_mul_f64 v[86:87], v[126:127], s[28:29]
	v_fma_f64 v[90:91], s[12:13], v[112:113], v[86:87]
	s_mov_b32 s39, 0x3fedeba7
	s_mov_b32 s38, s18
	v_mul_f64 v[94:95], v[126:127], s[26:27]
	v_add_f64 v[2:3], v[90:91], v[2:3]
	v_fma_f64 v[90:91], s[38:39], v[112:113], v[94:95]
	s_mov_b32 s31, 0x3fddbe06
	s_mov_b32 s30, s8
	v_mul_f64 v[104:105], v[126:127], s[6:7]
	v_add_f64 v[74:75], v[90:91], v[74:75]
	v_fma_f64 v[90:91], s[30:31], v[112:113], v[104:105]
	v_mul_f64 v[124:125], v[126:127], s[10:11]
	v_add_f64 v[76:77], v[90:91], v[76:77]
	v_fma_f64 v[90:91], s[2:3], v[112:113], v[124:125]
	v_add_f64 v[138:139], v[38:39], v[26:27]
	v_add_f64 v[78:79], v[90:91], v[78:79]
	v_add_f64 v[120:121], v[28:29], -v[40:41]
	v_mul_f64 v[90:91], v[138:139], s[26:27]
	v_fma_f64 v[98:99], s[18:19], v[120:121], v[90:91]
	v_add_f64 v[0:1], v[98:99], v[0:1]
	v_mul_f64 v[98:99], v[138:139], s[36:37]
	v_fma_f64 v[100:101], s[22:23], v[120:121], v[98:99]
	v_mul_f64 v[106:107], v[138:139], s[6:7]
	v_add_f64 v[2:3], v[100:101], v[2:3]
	v_fma_f64 v[100:101], s[30:31], v[120:121], v[106:107]
	v_mul_f64 v[114:115], v[138:139], s[34:35]
	v_add_f64 v[74:75], v[100:101], v[74:75]
	v_fma_f64 v[100:101], s[16:17], v[120:121], v[114:115]
	s_mov_b32 s41, 0x3fcea1e5
	s_mov_b32 s40, s12
	v_mul_f64 v[136:137], v[138:139], s[28:29]
	v_add_f64 v[76:77], v[100:101], v[76:77]
	v_fma_f64 v[100:101], s[40:41], v[120:121], v[136:137]
	v_add_f64 v[144:145], v[42:43], v[22:23]
	v_add_f64 v[78:79], v[100:101], v[78:79]
	v_add_f64 v[128:129], v[24:25], -v[44:45]
	v_mul_f64 v[100:101], v[144:145], s[36:37]
	v_fma_f64 v[110:111], s[20:21], v[128:129], v[100:101]
	v_add_f64 v[150:151], v[110:111], v[0:1]
	v_mul_f64 v[110:111], v[144:145], s[34:35]
	v_fma_f64 v[0:1], s[24:25], v[128:129], v[110:111]
	v_mul_f64 v[116:117], v[144:145], s[10:11]
	v_add_f64 v[0:1], v[0:1], v[2:3]
	v_fma_f64 v[2:3], s[2:3], v[128:129], v[116:117]
	v_mul_f64 v[132:133], v[144:145], s[28:29]
	v_add_f64 v[2:3], v[2:3], v[74:75]
	;; [unrolled: 3-line block ×3, first 2 shown]
	v_add_f64 v[76:77], v[74:75], v[76:77]
	v_fma_f64 v[74:75], s[30:31], v[128:129], v[142:143]
	v_add_f64 v[134:135], v[36:37], -v[32:33]
	v_mul_f64 v[118:119], v[148:149], s[6:7]
	v_add_f64 v[78:79], v[74:75], v[78:79]
	v_fma_f64 v[74:75], s[30:31], v[134:135], v[118:119]
	v_mul_f64 v[130:131], v[148:149], s[36:37]
	v_add_f64 v[0:1], v[74:75], v[0:1]
	v_fma_f64 v[74:75], s[20:21], v[134:135], v[130:131]
	s_mov_b32 s43, 0x3fea55e2
	s_mov_b32 s42, s2
	v_mul_f64 v[140:141], v[148:149], s[10:11]
	v_add_f64 v[74:75], v[74:75], v[2:3]
	v_fma_f64 v[2:3], s[42:43], v[134:135], v[140:141]
	v_mul_f64 v[146:147], v[148:149], s[26:27]
	v_add_f64 v[76:77], v[2:3], v[76:77]
	v_fma_f64 v[2:3], s[18:19], v[134:135], v[146:147]
	v_mul_f64 v[122:123], v[148:149], s[28:29]
	v_add_f64 v[78:79], v[2:3], v[78:79]
	v_fma_f64 v[2:3], s[12:13], v[134:135], v[122:123]
	v_add_f64 v[2:3], v[2:3], v[150:151]
	s_and_saveexec_b64 s[14:15], s[0:1]
	s_cbranch_execz .LBB0_13
; %bb.12:
	v_mul_f64 v[160:161], v[66:67], s[12:13]
	v_mul_f64 v[156:157], v[92:93], s[30:31]
	v_fma_f64 v[162:163], s[28:29], v[64:65], v[160:161]
	v_mul_f64 v[154:155], v[112:113], s[20:21]
	v_fma_f64 v[158:159], s[6:7], v[96:97], v[156:157]
	v_add_f64 v[162:163], v[6:7], v[162:163]
	v_fma_f64 v[64:65], v[64:65], s[28:29], -v[160:161]
	v_mul_f64 v[152:153], v[120:121], s[42:43]
	v_add_f64 v[158:159], v[158:159], v[162:163]
	v_fma_f64 v[162:163], s[36:37], v[126:127], v[154:155]
	v_fma_f64 v[96:97], v[96:97], s[6:7], -v[156:157]
	v_add_f64 v[64:65], v[6:7], v[64:65]
	v_mul_f64 v[150:151], v[128:129], s[18:19]
	v_add_f64 v[158:159], v[162:163], v[158:159]
	v_fma_f64 v[162:163], s[10:11], v[138:139], v[152:153]
	v_fma_f64 v[126:127], v[126:127], s[36:37], -v[154:155]
	v_add_f64 v[64:65], v[96:97], v[64:65]
	v_add_f64 v[158:159], v[162:163], v[158:159]
	v_fma_f64 v[162:163], s[26:27], v[144:145], v[150:151]
	v_fma_f64 v[138:139], v[138:139], s[10:11], -v[152:153]
	v_add_f64 v[64:65], v[126:127], v[64:65]
	v_add_f64 v[158:159], v[162:163], v[158:159]
	v_mul_f64 v[162:163], v[134:135], s[24:25]
	v_fma_f64 v[144:145], v[144:145], s[26:27], -v[150:151]
	v_add_f64 v[64:65], v[138:139], v[64:65]
	v_fma_f64 v[164:165], s[34:35], v[148:149], v[162:163]
	v_fma_f64 v[148:149], v[148:149], s[34:35], -v[162:163]
	v_add_f64 v[64:65], v[144:145], v[64:65]
	v_add_f64 v[64:65], v[148:149], v[64:65]
	v_mul_f64 v[148:149], v[134:135], s[18:19]
	v_mul_f64 v[162:163], v[66:67], s[8:9]
	;; [unrolled: 1-line block ×6, first 2 shown]
	v_add_f64 v[146:147], v[146:147], -v[148:149]
	v_mul_f64 v[148:149], v[128:129], s[30:31]
	v_mul_f64 v[156:157], v[92:93], s[2:3]
	;; [unrolled: 1-line block ×6, first 2 shown]
	v_add_f64 v[142:143], v[142:143], -v[148:149]
	v_mul_f64 v[148:149], v[120:121], s[40:41]
	v_add_f64 v[66:67], v[102:103], -v[66:67]
	v_add_f64 v[136:137], v[136:137], -v[148:149]
	v_mul_f64 v[148:149], v[112:113], s[2:3]
	v_add_f64 v[92:93], v[108:109], -v[92:93]
	v_add_f64 v[66:67], v[6:7], v[66:67]
	v_add_f64 v[84:85], v[84:85], -v[154:155]
	v_add_f64 v[68:69], v[68:69], -v[152:153]
	;; [unrolled: 1-line block ×5, first 2 shown]
	v_add_f64 v[66:67], v[92:93], v[66:67]
	v_add_f64 v[84:85], v[6:7], v[84:85]
	;; [unrolled: 1-line block ×8, first 2 shown]
	v_mul_f64 v[148:149], v[112:113], s[38:39]
	v_add_f64 v[66:67], v[136:137], v[66:67]
	v_add_f64 v[80:81], v[80:81], -v[96:97]
	v_add_f64 v[6:7], v[14:15], v[6:7]
	v_mul_f64 v[138:139], v[112:113], s[16:17]
	v_mul_f64 v[144:145], v[112:113], s[12:13]
	;; [unrolled: 1-line block ×4, first 2 shown]
	v_add_f64 v[66:67], v[142:143], v[66:67]
	v_add_f64 v[88:89], v[88:89], -v[126:127]
	v_add_f64 v[94:95], v[94:95], -v[148:149]
	v_add_f64 v[68:69], v[80:81], v[68:69]
	v_add_f64 v[6:7], v[26:27], v[6:7]
	v_mul_f64 v[124:125], v[128:129], s[20:21]
	v_mul_f64 v[136:137], v[128:129], s[24:25]
	;; [unrolled: 1-line block ×4, first 2 shown]
	v_add_f64 v[66:67], v[146:147], v[66:67]
	v_mul_f64 v[146:147], v[134:135], s[42:43]
	v_add_f64 v[104:105], v[104:105], -v[112:113]
	v_add_f64 v[84:85], v[88:89], v[84:85]
	v_add_f64 v[92:93], v[106:107], -v[92:93]
	v_add_f64 v[68:69], v[94:95], v[68:69]
	;; [unrolled: 2-line block ×3, first 2 shown]
	v_mul_f64 v[102:103], v[120:121], s[22:23]
	v_add_f64 v[140:141], v[140:141], -v[146:147]
	v_mul_f64 v[146:147], v[134:135], s[12:13]
	v_add_f64 v[128:129], v[132:133], -v[128:129]
	v_mul_f64 v[132:133], v[134:135], s[30:31]
	v_mul_f64 v[134:135], v[134:135], s[20:21]
	v_add_f64 v[84:85], v[104:105], v[84:85]
	v_add_f64 v[104:105], v[116:117], -v[142:143]
	v_add_f64 v[68:69], v[92:93], v[68:69]
	v_add_f64 v[86:87], v[86:87], -v[144:145]
	v_add_f64 v[60:61], v[62:63], v[60:61]
	v_add_f64 v[6:7], v[34:35], v[6:7]
	v_add_f64 v[88:89], v[130:131], -v[134:135]
	v_add_f64 v[68:69], v[104:105], v[68:69]
	v_add_f64 v[92:93], v[98:99], -v[102:103]
	;; [unrolled: 2-line block ×3, first 2 shown]
	v_add_f64 v[6:7], v[30:31], v[6:7]
	v_mul_f64 v[108:109], v[120:121], s[18:19]
	v_add_f64 v[68:69], v[88:89], v[68:69]
	v_add_f64 v[88:89], v[110:111], -v[136:137]
	v_add_f64 v[60:61], v[92:93], v[60:61]
	v_add_f64 v[82:83], v[82:83], -v[138:139]
	v_add_f64 v[4:5], v[58:59], v[4:5]
	v_add_f64 v[6:7], v[42:43], v[6:7]
	v_mul_f64 v[120:121], v[120:121], s[16:17]
	v_add_f64 v[80:81], v[118:119], -v[132:133]
	v_add_f64 v[60:61], v[88:89], v[60:61]
	v_add_f64 v[86:87], v[90:91], -v[108:109]
	v_add_f64 v[4:5], v[82:83], v[4:5]
	v_add_f64 v[6:7], v[38:39], v[6:7]
	v_add_f64 v[114:115], v[114:115], -v[120:121]
	v_add_f64 v[60:61], v[80:81], v[60:61]
	v_add_f64 v[80:81], v[100:101], -v[124:125]
	v_add_f64 v[4:5], v[86:87], v[4:5]
	v_add_f64 v[6:7], v[50:51], v[6:7]
	;; [unrolled: 1-line block ×3, first 2 shown]
	v_add_f64 v[62:63], v[122:123], -v[146:147]
	v_add_f64 v[4:5], v[80:81], v[4:5]
	v_add_f64 v[6:7], v[46:47], v[6:7]
	s_movk_i32 s2, 0x68
	v_add_f64 v[84:85], v[128:129], v[84:85]
	v_add_f64 v[4:5], v[62:63], v[4:5]
	;; [unrolled: 1-line block ×3, first 2 shown]
	v_mad_u32_u24 v58, v72, s2, 0
	v_add_f64 v[158:159], v[164:165], v[158:159]
	v_add_f64 v[84:85], v[140:141], v[84:85]
	ds_write2_b64 v58, v[6:7], v[4:5] offset1:1
	ds_write2_b64 v58, v[60:61], v[68:69] offset0:2 offset1:3
	ds_write2_b64 v58, v[84:85], v[66:67] offset0:4 offset1:5
	;; [unrolled: 1-line block ×5, first 2 shown]
	ds_write_b64 v58, v[2:3] offset:96
.LBB0_13:
	s_or_b64 exec, exec, s[14:15]
	v_lshl_add_u32 v150, v72, 3, 0
	v_add_u32_e32 v4, 0x1800, v150
	v_add_u32_e32 v152, 0x16c, v72
	s_waitcnt lgkmcnt(0)
	s_barrier
	ds_read2_b64 v[58:61], v4 offset0:51 offset1:233
	v_add_u32_e32 v153, 0x222, v72
	v_lshl_add_u32 v151, v152, 3, 0
	v_add_u32_e32 v4, 0x2400, v150
	ds_read2_b64 v[66:69], v150 offset1:182
	ds_read2_b64 v[62:65], v4 offset0:31 offset1:213
	v_lshl_add_u32 v73, v153, 3, 0
	ds_read_b64 v[80:81], v151
	ds_read_b64 v[82:83], v73
	s_movk_i32 s2, 0x5b
	v_cmp_gt_u32_e64 s[2:3], s2, v72
	s_and_saveexec_b64 s[6:7], s[2:3]
	s_cbranch_execz .LBB0_15
; %bb.14:
	ds_read_b64 v[78:79], v150 offset:5824
	ds_read_b64 v[76:77], v150 offset:12376
.LBB0_15:
	s_or_b64 exec, exec, s[6:7]
	s_mov_b32 s26, 0x66966769
	v_add_f64 v[10:11], v[10:11], -v[54:55]
	s_mov_b32 s6, 0xebaa3ed8
	s_mov_b32 s27, 0xbfefc445
	;; [unrolled: 1-line block ×3, first 2 shown]
	v_add_f64 v[84:85], v[56:57], v[12:13]
	s_mov_b32 s7, 0x3fbedb7d
	v_mul_f64 v[88:89], v[10:11], s[26:27]
	s_mov_b32 s12, 0xb2365da1
	s_mov_b32 s15, 0xbfedeba7
	;; [unrolled: 1-line block ×3, first 2 shown]
	v_fma_f64 v[90:91], v[84:85], s[6:7], -v[88:89]
	s_mov_b32 s13, 0xbfd6b1d8
	v_mul_f64 v[92:93], v[10:11], s[14:15]
	s_mov_b32 s22, 0xd0032e0c
	s_mov_b32 s25, 0xbfe5384d
	;; [unrolled: 1-line block ×5, first 2 shown]
	v_add_f64 v[100:101], v[8:9], v[90:91]
	v_fma_f64 v[90:91], v[84:85], s[12:13], -v[92:93]
	s_mov_b32 s23, 0xbfe7f3cc
	v_mul_f64 v[98:99], v[10:11], s[24:25]
	s_mov_b32 s17, 0x3fec55a7
	v_mul_f64 v[54:55], v[10:11], s[18:19]
	s_mov_b32 s8, 0x1ea71119
	s_mov_b32 s11, 0xbfea55e2
	;; [unrolled: 1-line block ×3, first 2 shown]
	v_add_f64 v[102:103], v[8:9], v[90:91]
	v_fma_f64 v[90:91], v[84:85], s[22:23], -v[98:99]
	v_add_f64 v[18:19], v[18:19], -v[46:47]
	v_fma_f64 v[4:5], v[84:85], s[16:17], -v[54:55]
	s_mov_b32 s9, 0x3fe22d96
	v_mul_f64 v[86:87], v[10:11], s[10:11]
	v_add_f64 v[104:105], v[8:9], v[90:91]
	v_add_f64 v[90:91], v[48:49], v[20:21]
	v_mul_f64 v[94:95], v[18:19], s[10:11]
	s_mov_b32 s30, 0x4bc48dbf
	v_add_f64 v[4:5], v[8:9], v[4:5]
	v_fma_f64 v[6:7], v[84:85], s[8:9], -v[86:87]
	v_fma_f64 v[46:47], v[90:91], s[8:9], -v[94:95]
	v_mul_f64 v[96:97], v[18:19], s[14:15]
	s_mov_b32 s31, 0xbfcea1e5
	v_add_f64 v[6:7], v[8:9], v[6:7]
	v_add_f64 v[4:5], v[46:47], v[4:5]
	v_fma_f64 v[46:47], v[90:91], s[12:13], -v[96:97]
	v_mul_f64 v[106:107], v[18:19], s[30:31]
	s_mov_b32 s35, 0x3fe5384d
	s_mov_b32 s34, s24
	v_add_f64 v[6:7], v[46:47], v[6:7]
	v_fma_f64 v[46:47], v[90:91], s[28:29], -v[106:107]
	v_mul_f64 v[108:109], v[18:19], s[34:35]
	s_mov_b32 s21, 0x3fefc445
	s_mov_b32 s20, s26
	v_add_f64 v[46:47], v[46:47], v[100:101]
	v_fma_f64 v[100:101], v[90:91], s[22:23], -v[108:109]
	v_mul_f64 v[114:115], v[18:19], s[20:21]
	v_add_f64 v[116:117], v[100:101], v[102:103]
	v_fma_f64 v[100:101], v[90:91], s[6:7], -v[114:115]
	v_add_f64 v[102:103], v[14:15], -v[50:51]
	v_add_f64 v[104:105], v[100:101], v[104:105]
	v_add_f64 v[100:101], v[52:53], v[16:17]
	v_mul_f64 v[126:127], v[102:103], s[10:11]
	v_mul_f64 v[110:111], v[102:103], s[26:27]
	v_fma_f64 v[50:51], v[100:101], s[8:9], -v[126:127]
	v_add_f64 v[26:27], v[26:27], -v[38:39]
	v_fma_f64 v[14:15], v[100:101], s[6:7], -v[110:111]
	v_mul_f64 v[112:113], v[102:103], s[30:31]
	s_mov_b32 s37, 0x3fedeba7
	s_mov_b32 s36, s14
	v_add_f64 v[50:51], v[50:51], v[104:105]
	v_add_f64 v[104:105], v[40:41], v[28:29]
	v_mul_f64 v[120:121], v[26:27], s[14:15]
	v_add_f64 v[4:5], v[14:15], v[4:5]
	v_fma_f64 v[14:15], v[100:101], s[28:29], -v[112:113]
	v_mul_f64 v[118:119], v[102:103], s[36:37]
	s_mov_b32 s19, 0x3fddbe06
	v_fma_f64 v[38:39], v[104:105], s[12:13], -v[120:121]
	v_mul_f64 v[124:125], v[26:27], s[34:35]
	v_add_f64 v[6:7], v[14:15], v[6:7]
	v_fma_f64 v[14:15], v[100:101], s[12:13], -v[118:119]
	v_mul_f64 v[122:123], v[102:103], s[18:19]
	v_add_f64 v[4:5], v[38:39], v[4:5]
	;; [unrolled: 3-line block ×3, first 2 shown]
	v_fma_f64 v[46:47], v[100:101], s[16:17], -v[122:123]
	v_add_f64 v[6:7], v[38:39], v[6:7]
	v_fma_f64 v[38:39], v[104:105], s[16:17], -v[128:129]
	v_mul_f64 v[130:131], v[26:27], s[26:27]
	s_mov_b32 s27, 0x3fcea1e5
	s_mov_b32 s26, s30
	v_add_f64 v[46:47], v[46:47], v[116:117]
	v_add_f64 v[14:15], v[38:39], v[14:15]
	v_fma_f64 v[38:39], v[104:105], s[6:7], -v[130:131]
	v_mul_f64 v[138:139], v[26:27], s[26:27]
	v_add_f64 v[46:47], v[38:39], v[46:47]
	v_fma_f64 v[38:39], v[104:105], s[28:29], -v[138:139]
	v_add_f64 v[116:117], v[22:23], -v[42:43]
	v_add_f64 v[50:51], v[38:39], v[50:51]
	v_add_f64 v[38:39], v[44:45], v[24:25]
	v_mul_f64 v[132:133], v[116:117], s[24:25]
	v_fma_f64 v[22:23], v[38:39], s[22:23], -v[132:133]
	v_mul_f64 v[134:135], v[116:117], s[20:21]
	v_add_f64 v[4:5], v[22:23], v[4:5]
	v_fma_f64 v[22:23], v[38:39], s[6:7], -v[134:135]
	v_mul_f64 v[140:141], v[116:117], s[10:11]
	v_add_f64 v[42:43], v[22:23], v[6:7]
	;; [unrolled: 3-line block ×3, first 2 shown]
	v_fma_f64 v[6:7], v[38:39], s[28:29], -v[146:147]
	v_mul_f64 v[148:149], v[116:117], s[18:19]
	v_add_f64 v[22:23], v[34:35], -v[30:31]
	v_add_f64 v[46:47], v[6:7], v[46:47]
	v_fma_f64 v[6:7], v[38:39], s[16:17], -v[148:149]
	v_add_f64 v[14:15], v[32:33], v[36:37]
	v_mul_f64 v[142:143], v[22:23], s[30:31]
	v_add_f64 v[154:155], v[6:7], v[50:51]
	v_fma_f64 v[6:7], v[14:15], s[28:29], -v[142:143]
	v_mul_f64 v[34:35], v[22:23], s[18:19]
	v_add_f64 v[6:7], v[6:7], v[4:5]
	v_fma_f64 v[4:5], v[14:15], s[16:17], -v[34:35]
	v_mul_f64 v[30:31], v[22:23], s[24:25]
	s_mov_b32 s11, 0x3fea55e2
	v_add_f64 v[4:5], v[4:5], v[42:43]
	v_fma_f64 v[42:43], v[14:15], s[22:23], -v[30:31]
	v_mul_f64 v[144:145], v[22:23], s[10:11]
	v_add_f64 v[50:51], v[42:43], v[136:137]
	v_fma_f64 v[42:43], v[14:15], s[8:9], -v[144:145]
	v_mul_f64 v[136:137], v[22:23], s[14:15]
	v_add_f64 v[46:47], v[42:43], v[46:47]
	v_fma_f64 v[42:43], v[14:15], s[12:13], -v[136:137]
	v_add_f64 v[42:43], v[42:43], v[154:155]
	s_waitcnt lgkmcnt(0)
	s_barrier
	s_and_saveexec_b64 s[26:27], s[0:1]
	s_cbranch_execz .LBB0_17
; %bb.16:
	v_add_f64 v[12:13], v[12:13], v[8:9]
	v_add_f64 v[12:13], v[20:21], v[12:13]
	v_mul_f64 v[20:21], v[84:85], s[22:23]
	v_add_f64 v[12:13], v[16:17], v[12:13]
	v_mul_f64 v[154:155], v[84:85], s[16:17]
	v_mul_f64 v[156:157], v[84:85], s[8:9]
	;; [unrolled: 1-line block ×4, first 2 shown]
	v_add_f64 v[12:13], v[28:29], v[12:13]
	v_mul_f64 v[166:167], v[90:91], s[6:7]
	v_add_f64 v[20:21], v[20:21], v[98:99]
	v_mul_f64 v[10:11], v[10:11], s[30:31]
	v_mul_f64 v[28:29], v[90:91], s[22:23]
	v_add_f64 v[12:13], v[24:25], v[12:13]
	v_add_f64 v[54:55], v[154:155], v[54:55]
	;; [unrolled: 1-line block ×6, first 2 shown]
	v_fma_f64 v[98:99], s[28:29], v[84:85], v[10:11]
	v_fma_f64 v[10:11], v[84:85], s[28:29], -v[10:11]
	v_add_f64 v[84:85], v[166:167], v[114:115]
	v_mul_f64 v[18:19], v[18:19], s[18:19]
	v_mul_f64 v[24:25], v[100:101], s[6:7]
	v_add_f64 v[12:13], v[36:37], v[12:13]
	v_mul_f64 v[170:171], v[100:101], s[16:17]
	v_add_f64 v[54:55], v[8:9], v[54:55]
	v_add_f64 v[86:87], v[8:9], v[86:87]
	;; [unrolled: 1-line block ×8, first 2 shown]
	v_fma_f64 v[84:85], s[16:17], v[90:91], v[18:19]
	v_fma_f64 v[18:19], v[90:91], s[16:17], -v[18:19]
	v_add_f64 v[12:13], v[32:33], v[12:13]
	v_mul_f64 v[32:33], v[100:101], s[8:9]
	v_add_f64 v[28:29], v[28:29], v[92:93]
	v_add_f64 v[8:9], v[18:19], v[8:9]
	;; [unrolled: 1-line block ×4, first 2 shown]
	v_mul_f64 v[162:163], v[90:91], s[8:9]
	v_add_f64 v[24:25], v[24:25], v[28:29]
	v_add_f64 v[28:29], v[32:33], v[126:127]
	v_mul_f64 v[16:17], v[90:91], s[12:13]
	v_add_f64 v[10:11], v[162:163], v[94:95]
	v_add_f64 v[20:21], v[28:29], v[20:21]
	v_mul_f64 v[28:29], v[102:103], s[24:25]
	v_mul_f64 v[164:165], v[90:91], s[28:29]
	;; [unrolled: 1-line block ×4, first 2 shown]
	v_add_f64 v[10:11], v[10:11], v[54:55]
	v_add_f64 v[16:17], v[16:17], v[96:97]
	v_fma_f64 v[32:33], s[22:23], v[100:101], v[28:29]
	v_fma_f64 v[28:29], v[100:101], s[22:23], -v[28:29]
	v_mul_f64 v[36:37], v[100:101], s[12:13]
	v_add_f64 v[12:13], v[44:45], v[12:13]
	v_mul_f64 v[44:45], v[104:105], s[22:23]
	v_add_f64 v[16:17], v[16:17], v[86:87]
	v_add_f64 v[54:55], v[164:165], v[106:107]
	;; [unrolled: 1-line block ×6, first 2 shown]
	v_mul_f64 v[174:175], v[104:105], s[16:17]
	v_add_f64 v[54:55], v[54:55], v[88:89]
	v_add_f64 v[16:17], v[18:19], v[16:17]
	;; [unrolled: 1-line block ×6, first 2 shown]
	v_mul_f64 v[40:41], v[104:105], s[6:7]
	v_add_f64 v[18:19], v[18:19], v[54:55]
	v_add_f64 v[16:17], v[28:29], v[16:17]
	v_add_f64 v[28:29], v[174:175], v[128:129]
	v_mul_f64 v[176:177], v[104:105], s[28:29]
	v_add_f64 v[18:19], v[28:29], v[18:19]
	v_add_f64 v[28:29], v[40:41], v[130:131]
	;; [unrolled: 1-line block ×4, first 2 shown]
	v_mul_f64 v[26:27], v[26:27], s[10:11]
	v_add_f64 v[12:13], v[52:53], v[12:13]
	v_mul_f64 v[52:53], v[38:39], s[22:23]
	v_add_f64 v[20:21], v[28:29], v[20:21]
	v_fma_f64 v[28:29], s[8:9], v[104:105], v[26:27]
	v_fma_f64 v[26:27], v[104:105], s[8:9], -v[26:27]
	v_mul_f64 v[178:179], v[38:39], s[6:7]
	v_add_f64 v[8:9], v[26:27], v[8:9]
	v_add_f64 v[26:27], v[52:53], v[132:133]
	;; [unrolled: 1-line block ×3, first 2 shown]
	v_mul_f64 v[48:49], v[38:39], s[8:9]
	v_add_f64 v[10:11], v[26:27], v[10:11]
	v_add_f64 v[26:27], v[178:179], v[134:135]
	v_mul_f64 v[180:181], v[38:39], s[28:29]
	v_add_f64 v[16:17], v[26:27], v[16:17]
	v_add_f64 v[26:27], v[48:49], v[140:141]
	;; [unrolled: 1-line block ×3, first 2 shown]
	v_mul_f64 v[56:57], v[38:39], s[16:17]
	v_add_f64 v[18:19], v[26:27], v[18:19]
	v_add_f64 v[26:27], v[180:181], v[146:147]
	;; [unrolled: 1-line block ×7, first 2 shown]
	v_mul_f64 v[26:27], v[116:117], s[14:15]
	v_mul_f64 v[182:183], v[14:15], s[28:29]
	v_add_f64 v[28:29], v[28:29], v[32:33]
	v_fma_f64 v[32:33], s[12:13], v[38:39], v[26:27]
	v_fma_f64 v[26:27], v[38:39], s[12:13], -v[26:27]
	v_mul_f64 v[154:155], v[14:15], s[16:17]
	v_add_f64 v[8:9], v[26:27], v[8:9]
	v_add_f64 v[26:27], v[182:183], v[142:143]
	v_mul_f64 v[156:157], v[14:15], s[22:23]
	v_add_f64 v[10:11], v[26:27], v[10:11]
	v_add_f64 v[26:27], v[154:155], v[34:35]
	v_mul_f64 v[158:159], v[14:15], s[8:9]
	v_add_f64 v[16:17], v[26:27], v[16:17]
	v_add_f64 v[26:27], v[156:157], v[30:31]
	v_mul_f64 v[160:161], v[14:15], s[12:13]
	v_add_f64 v[18:19], v[26:27], v[18:19]
	v_add_f64 v[26:27], v[158:159], v[144:145]
	v_add_f64 v[24:25], v[26:27], v[24:25]
	v_add_f64 v[26:27], v[160:161], v[136:137]
	v_mul_f64 v[22:23], v[22:23], s[20:21]
	v_add_f64 v[20:21], v[26:27], v[20:21]
	v_fma_f64 v[26:27], s[6:7], v[14:15], v[22:23]
	v_fma_f64 v[14:15], v[14:15], s[6:7], -v[22:23]
	s_movk_i32 s0, 0x60
	v_add_f64 v[28:29], v[32:33], v[28:29]
	v_add_f64 v[8:9], v[14:15], v[8:9]
	v_mad_u32_u24 v14, v72, s0, v150
	v_add_f64 v[26:27], v[26:27], v[28:29]
	ds_write2_b64 v14, v[12:13], v[10:11] offset1:1
	ds_write2_b64 v14, v[16:17], v[18:19] offset0:2 offset1:3
	ds_write2_b64 v14, v[24:25], v[20:21] offset0:4 offset1:5
	;; [unrolled: 1-line block ×5, first 2 shown]
	ds_write_b64 v14, v[6:7] offset:96
.LBB0_17:
	s_or_b64 exec, exec, s[26:27]
	v_add_u32_e32 v12, 0x1800, v150
	s_waitcnt lgkmcnt(0)
	s_barrier
	ds_read2_b64 v[18:21], v12 offset0:51 offset1:233
	v_add_u32_e32 v12, 0x2400, v150
	ds_read2_b64 v[8:11], v150 offset1:182
	ds_read2_b64 v[12:15], v12 offset0:31 offset1:213
	ds_read_b64 v[48:49], v151
	ds_read_b64 v[44:45], v73
	s_and_saveexec_b64 s[0:1], s[2:3]
	s_cbranch_execz .LBB0_19
; %bb.18:
	ds_read_b64 v[42:43], v150 offset:5824
	ds_read_b64 v[46:47], v150 offset:12376
.LBB0_19:
	s_or_b64 exec, exec, s[0:1]
	s_movk_i32 s0, 0x4f
	v_mul_lo_u16_sdwa v17, v72, s0 dst_sel:DWORD dst_unused:UNUSED_PAD src0_sel:BYTE_0 src1_sel:DWORD
	v_lshrrev_b16_e32 v17, 10, v17
	v_mul_lo_u16_e32 v22, 13, v17
	v_add_u32_e32 v88, 0xb6, v72
	v_sub_u16_e32 v53, v72, v22
	v_mov_b32_e32 v22, 4
	s_movk_i32 s0, 0x4ec5
	v_lshlrev_b32_sdwa v30, v22, v53 dst_sel:DWORD dst_unused:UNUSED_PAD src0_sel:DWORD src1_sel:BYTE_0
	v_mul_u32_u24_sdwa v22, v88, s0 dst_sel:DWORD dst_unused:UNUSED_PAD src0_sel:WORD_0 src1_sel:DWORD
	v_lshrrev_b32_e32 v52, 18, v22
	v_mul_lo_u16_e32 v22, 13, v52
	v_sub_u16_e32 v54, v88, v22
	v_lshlrev_b32_e32 v31, 4, v54
	global_load_dwordx4 v[26:29], v30, s[4:5]
	global_load_dwordx4 v[22:25], v31, s[4:5]
	v_mul_u32_u24_sdwa v30, v152, s0 dst_sel:DWORD dst_unused:UNUSED_PAD src0_sel:WORD_0 src1_sel:DWORD
	v_lshrrev_b32_e32 v55, 18, v30
	v_mul_lo_u16_e32 v30, 13, v55
	v_sub_u16_e32 v56, v152, v30
	v_mul_u32_u24_sdwa v30, v153, s0 dst_sel:DWORD dst_unused:UNUSED_PAD src0_sel:WORD_0 src1_sel:DWORD
	v_lshrrev_b32_e32 v57, 18, v30
	v_mul_lo_u16_e32 v30, 13, v57
	v_add_u32_e32 v16, 0x2d8, v72
	v_lshlrev_b32_e32 v38, 4, v56
	v_sub_u16_e32 v84, v153, v30
	v_lshlrev_b32_e32 v39, 4, v84
	global_load_dwordx4 v[34:37], v38, s[4:5]
	global_load_dwordx4 v[30:33], v39, s[4:5]
	v_mul_u32_u24_sdwa v38, v16, s0 dst_sel:DWORD dst_unused:UNUSED_PAD src0_sel:WORD_0 src1_sel:DWORD
	v_lshrrev_b32_e32 v85, 18, v38
	v_mul_lo_u16_e32 v38, 13, v85
	v_sub_u16_e32 v89, v16, v38
	v_lshlrev_b32_e32 v16, 4, v89
	global_load_dwordx4 v[38:41], v16, s[4:5]
	s_mov_b32 s1, 0x5040100
	s_movk_i32 s0, 0xd0
	v_mov_b32_e32 v16, 3
	v_perm_b32 v55, v57, v55, s1
	v_mul_u32_u24_e32 v17, 0xd0, v17
	v_pk_mul_lo_u16 v55, v55, s0 op_sel_hi:[1,0]
	v_lshlrev_b32_sdwa v16, v16, v53 dst_sel:DWORD dst_unused:UNUSED_PAD src0_sel:DWORD src1_sel:BYTE_0
	v_mul_u32_u24_e32 v86, 0xd0, v52
	v_mul_lo_u16_e32 v52, 26, v85
	v_lshlrev_b32_e32 v54, 3, v54
	v_and_b32_e32 v57, 0xfff0, v55
	v_lshlrev_b32_e32 v56, 3, v56
	v_lshrrev_b32_e32 v85, 16, v55
	v_lshlrev_b32_e32 v84, 3, v84
	v_add3_u32 v53, 0, v17, v16
	v_add3_u32 v54, 0, v86, v54
	;; [unrolled: 1-line block ×4, first 2 shown]
	v_lshlrev_b32_e32 v57, 3, v89
	s_waitcnt lgkmcnt(0)
	s_barrier
	s_waitcnt vmcnt(4)
	v_mul_f64 v[16:17], v[18:19], v[28:29]
	s_waitcnt vmcnt(3)
	v_mul_f64 v[84:85], v[20:21], v[24:25]
	v_fma_f64 v[16:17], v[58:59], v[26:27], -v[16:17]
	v_fma_f64 v[84:85], v[60:61], v[22:23], -v[84:85]
	v_add_f64 v[94:95], v[66:67], -v[16:17]
	v_add_f64 v[84:85], v[68:69], -v[84:85]
	v_fma_f64 v[66:67], v[66:67], 2.0, -v[94:95]
	v_fma_f64 v[68:69], v[68:69], 2.0, -v[84:85]
	s_waitcnt vmcnt(2)
	v_mul_f64 v[86:87], v[12:13], v[36:37]
	s_waitcnt vmcnt(1)
	v_mul_f64 v[90:91], v[14:15], v[32:33]
	v_fma_f64 v[86:87], v[62:63], v[34:35], -v[86:87]
	v_fma_f64 v[90:91], v[64:65], v[30:31], -v[90:91]
	v_add_f64 v[86:87], v[80:81], -v[86:87]
	v_add_f64 v[90:91], v[82:83], -v[90:91]
	v_fma_f64 v[80:81], v[80:81], 2.0, -v[86:87]
	s_waitcnt vmcnt(0)
	v_mul_f64 v[92:93], v[46:47], v[40:41]
	v_fma_f64 v[92:93], v[76:77], v[38:39], -v[92:93]
	v_add_f64 v[16:17], v[78:79], -v[92:93]
	v_fma_f64 v[82:83], v[82:83], 2.0, -v[90:91]
	ds_write2_b64 v53, v[66:67], v[94:95] offset1:13
	ds_write2_b64 v54, v[68:69], v[84:85] offset1:13
	;; [unrolled: 1-line block ×4, first 2 shown]
	s_and_saveexec_b64 s[0:1], s[2:3]
	s_cbranch_execz .LBB0_21
; %bb.20:
	v_lshlrev_b32_e32 v68, 3, v52
	v_fma_f64 v[66:67], v[78:79], 2.0, -v[16:17]
	v_add3_u32 v68, 0, v57, v68
	ds_write2_b64 v68, v[66:67], v[16:17] offset1:13
.LBB0_21:
	s_or_b64 exec, exec, s[0:1]
	v_mul_f64 v[28:29], v[58:59], v[28:29]
	v_fmac_f64_e32 v[28:29], v[18:19], v[26:27]
	v_mul_f64 v[18:19], v[60:61], v[24:25]
	v_fmac_f64_e32 v[18:19], v[20:21], v[22:23]
	v_mul_f64 v[20:21], v[62:63], v[36:37]
	v_fmac_f64_e32 v[20:21], v[12:13], v[34:35]
	v_mul_f64 v[12:13], v[64:65], v[32:33]
	v_fmac_f64_e32 v[12:13], v[14:15], v[30:31]
	v_mul_f64 v[14:15], v[76:77], v[40:41]
	v_add_f64 v[18:19], v[10:11], -v[18:19]
	v_fmac_f64_e32 v[14:15], v[46:47], v[38:39]
	v_add_f64 v[34:35], v[8:9], -v[28:29]
	v_fma_f64 v[38:39], v[10:11], 2.0, -v[18:19]
	v_add_f64 v[40:41], v[48:49], -v[20:21]
	v_add_u32_e32 v10, 0x2000, v150
	v_add_u32_e32 v11, 0x1600, v150
	v_fma_f64 v[36:37], v[8:9], 2.0, -v[34:35]
	v_fma_f64 v[46:47], v[48:49], 2.0, -v[40:41]
	v_add_f64 v[48:49], v[44:45], -v[12:13]
	v_add_f64 v[20:21], v[42:43], -v[14:15]
	s_waitcnt lgkmcnt(0)
	s_barrier
	ds_read2_b64 v[22:25], v150 offset1:182
	ds_read2_b64 v[30:33], v10 offset0:68 offset1:250
	ds_read2_b64 v[26:29], v11 offset0:24 offset1:206
	ds_read_b64 v[12:13], v73
	ds_read_b64 v[14:15], v151
	ds_read_b64 v[8:9], v150 offset:11648
	v_fma_f64 v[44:45], v[44:45], 2.0, -v[48:49]
	s_waitcnt lgkmcnt(0)
	s_barrier
	ds_write2_b64 v53, v[36:37], v[34:35] offset1:13
	ds_write2_b64 v54, v[38:39], v[18:19] offset1:13
	ds_write2_b64 v55, v[46:47], v[40:41] offset1:13
	ds_write2_b64 v56, v[44:45], v[48:49] offset1:13
	s_and_saveexec_b64 s[0:1], s[2:3]
	s_cbranch_execz .LBB0_23
; %bb.22:
	v_lshlrev_b32_e32 v34, 3, v52
	v_fma_f64 v[18:19], v[42:43], 2.0, -v[20:21]
	v_add3_u32 v34, 0, v57, v34
	ds_write2_b64 v34, v[18:19], v[20:21] offset1:13
.LBB0_23:
	s_or_b64 exec, exec, s[0:1]
	s_movk_i32 s0, 0x4f
	v_mul_lo_u16_sdwa v18, v72, s0 dst_sel:DWORD dst_unused:UNUSED_PAD src0_sel:BYTE_0 src1_sel:DWORD
	v_lshrrev_b16_e32 v44, 11, v18
	v_mul_lo_u16_e32 v18, 26, v44
	v_sub_u16_e32 v45, v72, v18
	v_mov_b32_e32 v18, 5
	v_lshlrev_b32_sdwa v18, v18, v45 dst_sel:DWORD dst_unused:UNUSED_PAD src0_sel:DWORD src1_sel:BYTE_0
	s_movk_i32 s0, 0x4ec5
	s_waitcnt lgkmcnt(0)
	s_barrier
	global_load_dwordx4 v[34:37], v18, s[4:5] offset:224
	global_load_dwordx4 v[52:55], v18, s[4:5] offset:208
	v_mul_u32_u24_sdwa v18, v88, s0 dst_sel:DWORD dst_unused:UNUSED_PAD src0_sel:WORD_0 src1_sel:DWORD
	v_lshrrev_b32_e32 v46, 19, v18
	v_mul_lo_u16_e32 v18, 26, v46
	v_sub_u16_e32 v77, v88, v18
	v_lshlrev_b32_e32 v18, 5, v77
	global_load_dwordx4 v[78:81], v18, s[4:5] offset:224
	global_load_dwordx4 v[64:67], v18, s[4:5] offset:208
	v_mul_u32_u24_sdwa v18, v152, s0 dst_sel:DWORD dst_unused:UNUSED_PAD src0_sel:WORD_0 src1_sel:DWORD
	v_lshrrev_b32_e32 v89, 19, v18
	v_mul_lo_u16_e32 v18, 26, v89
	v_sub_u16_e32 v102, v152, v18
	v_lshlrev_b32_e32 v18, 5, v102
	global_load_dwordx4 v[82:85], v18, s[4:5] offset:208
	global_load_dwordx4 v[90:93], v18, s[4:5] offset:224
	ds_read2_b64 v[40:43], v150 offset1:182
	ds_read2_b64 v[94:97], v10 offset0:68 offset1:250
	ds_read2_b64 v[98:101], v11 offset0:24 offset1:206
	ds_read_b64 v[18:19], v73
	ds_read_b64 v[10:11], v151
	ds_read_b64 v[38:39], v150 offset:11648
	v_mov_b32_e32 v47, 3
	s_mov_b32 s2, 0xe8584caa
	v_mul_u32_u24_e32 v44, 0x270, v44
	v_lshlrev_b32_sdwa v45, v47, v45 dst_sel:DWORD dst_unused:UNUSED_PAD src0_sel:DWORD src1_sel:BYTE_0
	s_mov_b32 s3, 0x3febb67a
	s_mov_b32 s7, 0xbfebb67a
	;; [unrolled: 1-line block ×3, first 2 shown]
	v_add3_u32 v76, 0, v44, v45
	v_mul_u32_u24_e32 v103, 0x270, v46
	s_waitcnt lgkmcnt(0)
	s_barrier
	v_cmp_gt_u32_e64 s[0:1], 52, v72
	s_waitcnt vmcnt(5)
	v_mul_f64 v[62:63], v[94:95], v[36:37]
	s_waitcnt vmcnt(4)
	v_mul_f64 v[48:49], v[18:19], v[54:55]
	v_mul_f64 v[58:59], v[12:13], v[54:55]
	v_mul_f64 v[60:61], v[30:31], v[36:37]
	v_fma_f64 v[68:69], v[30:31], v[34:35], -v[62:63]
	v_fmac_f64_e32 v[58:59], v[18:19], v[52:53]
	s_waitcnt vmcnt(3)
	v_mul_f64 v[86:87], v[96:97], v[80:81]
	s_waitcnt vmcnt(2)
	v_mul_f64 v[36:37], v[98:99], v[66:67]
	v_mul_f64 v[54:55], v[26:27], v[66:67]
	v_fma_f64 v[66:67], v[12:13], v[52:53], -v[48:49]
	v_mul_f64 v[56:57], v[32:33], v[80:81]
	v_fmac_f64_e32 v[60:61], v[94:95], v[34:35]
	s_waitcnt vmcnt(1)
	v_mul_f64 v[80:81], v[100:101], v[84:85]
	v_add_f64 v[18:19], v[66:67], v[68:69]
	v_mul_f64 v[44:45], v[28:29], v[84:85]
	s_waitcnt vmcnt(0)
	v_mul_f64 v[84:85], v[38:39], v[92:93]
	v_fma_f64 v[62:63], v[26:27], v[64:65], -v[36:37]
	v_fma_f64 v[26:27], v[28:29], v[82:83], -v[80:81]
	v_add_f64 v[12:13], v[22:23], v[66:67]
	v_add_f64 v[28:29], v[58:59], -v[60:61]
	v_fma_f64 v[18:19], -0.5, v[18:19], v[22:23]
	v_mul_f64 v[46:47], v[8:9], v[92:93]
	v_fmac_f64_e32 v[54:55], v[98:99], v[64:65]
	v_fma_f64 v[64:65], v[32:33], v[78:79], -v[86:87]
	v_fma_f64 v[8:9], v[8:9], v[90:91], -v[84:85]
	v_add_f64 v[52:53], v[12:13], v[68:69]
	v_fma_f64 v[22:23], s[2:3], v[28:29], v[18:19]
	v_fmac_f64_e32 v[18:19], s[6:7], v[28:29]
	v_fmac_f64_e32 v[56:57], v[96:97], v[78:79]
	;; [unrolled: 1-line block ×4, first 2 shown]
	v_add_f64 v[32:33], v[62:63], v[64:65]
	v_add_f64 v[38:39], v[26:27], v[8:9]
	ds_write2_b64 v76, v[52:53], v[22:23] offset1:26
	ds_write_b64 v76, v[18:19] offset:416
	v_lshlrev_b32_e32 v18, 3, v77
	v_add_f64 v[30:31], v[24:25], v[62:63]
	v_add_f64 v[34:35], v[54:55], -v[56:57]
	v_add_f64 v[36:37], v[14:15], v[26:27]
	v_add_f64 v[48:49], v[44:45], -v[46:47]
	v_fmac_f64_e32 v[24:25], -0.5, v[32:33]
	v_fmac_f64_e32 v[14:15], -0.5, v[38:39]
	v_add3_u32 v22, 0, v103, v18
	v_mul_u32_u24_e32 v18, 0x270, v89
	v_lshlrev_b32_e32 v19, 3, v102
	v_add_f64 v[30:31], v[30:31], v[64:65]
	v_add_f64 v[32:33], v[36:37], v[8:9]
	v_fma_f64 v[28:29], s[2:3], v[34:35], v[24:25]
	v_fma_f64 v[12:13], s[2:3], v[48:49], v[14:15]
	v_add3_u32 v23, 0, v18, v19
	v_add_u32_e32 v77, 0xe00, v150
	v_add_u32_e32 v78, 0x1d00, v150
	v_fmac_f64_e32 v[24:25], s[6:7], v[34:35]
	v_fmac_f64_e32 v[14:15], s[6:7], v[48:49]
	ds_write2_b64 v22, v[30:31], v[28:29] offset1:26
	ds_write_b64 v22, v[24:25] offset:416
	ds_write2_b64 v23, v[32:33], v[12:13] offset1:26
	ds_write_b64 v23, v[14:15] offset:416
	s_waitcnt lgkmcnt(0)
	s_barrier
	ds_read2_b64 v[28:31], v150 offset1:234
	ds_read2_b64 v[36:39], v77 offset0:20 offset1:254
	ds_read2_b64 v[32:35], v78 offset0:8 offset1:242
	ds_read_b64 v[48:49], v150 offset:11232
                                        ; implicit-def: $vgpr52_vgpr53
	s_and_saveexec_b64 s[8:9], s[0:1]
	s_cbranch_execz .LBB0_25
; %bb.24:
	v_add_u32_e32 v0, 0x580, v150
	ds_read2_b64 v[12:15], v0 offset0:6 offset1:240
	v_add_u32_e32 v16, 0x1400, v150
	v_add_u32_e32 v0, 0x2280, v150
	ds_read2_b64 v[0:3], v0 offset0:14 offset1:248
	ds_read2_b64 v[16:19], v16 offset0:10 offset1:244
	ds_read_b64 v[52:53], v150 offset:12688
	s_waitcnt lgkmcnt(1)
	v_mov_b64_e32 v[74:75], v[18:19]
.LBB0_25:
	s_or_b64 exec, exec, s[8:9]
	v_add_f64 v[24:25], v[58:59], v[60:61]
	v_add_f64 v[18:19], v[40:41], v[58:59]
	v_fma_f64 v[24:25], -0.5, v[24:25], v[40:41]
	v_add_f64 v[40:41], v[66:67], -v[68:69]
	v_fma_f64 v[58:59], s[6:7], v[40:41], v[24:25]
	v_fmac_f64_e32 v[24:25], s[2:3], v[40:41]
	v_add_f64 v[40:41], v[42:43], v[54:55]
	v_add_f64 v[54:55], v[54:55], v[56:57]
	v_fmac_f64_e32 v[42:43], -0.5, v[54:55]
	v_add_f64 v[54:55], v[62:63], -v[64:65]
	v_add_f64 v[40:41], v[40:41], v[56:57]
	v_fma_f64 v[56:57], s[6:7], v[54:55], v[42:43]
	v_fmac_f64_e32 v[42:43], s[2:3], v[54:55]
	v_add_f64 v[54:55], v[10:11], v[44:45]
	v_add_f64 v[44:45], v[44:45], v[46:47]
	;; [unrolled: 1-line block ×3, first 2 shown]
	v_fmac_f64_e32 v[10:11], -0.5, v[44:45]
	v_add_f64 v[26:27], v[26:27], -v[8:9]
	v_add_f64 v[54:55], v[54:55], v[46:47]
	v_fma_f64 v[8:9], s[6:7], v[26:27], v[10:11]
	v_fmac_f64_e32 v[10:11], s[2:3], v[26:27]
	s_waitcnt lgkmcnt(0)
	s_barrier
	ds_write2_b64 v76, v[18:19], v[58:59] offset1:26
	ds_write_b64 v76, v[24:25] offset:416
	ds_write2_b64 v22, v[40:41], v[56:57] offset1:26
	ds_write_b64 v22, v[42:43] offset:416
	;; [unrolled: 2-line block ×3, first 2 shown]
	s_waitcnt lgkmcnt(0)
	s_barrier
	ds_read2_b64 v[24:27], v150 offset1:234
	ds_read2_b64 v[44:47], v77 offset0:20 offset1:254
	ds_read2_b64 v[40:43], v78 offset0:8 offset1:242
	ds_read_b64 v[18:19], v150 offset:11232
                                        ; implicit-def: $vgpr64_vgpr65
	s_and_saveexec_b64 s[2:3], s[0:1]
	s_cbranch_execz .LBB0_27
; %bb.26:
	v_add_u32_e32 v4, 0x580, v150
	ds_read2_b64 v[8:11], v4 offset0:6 offset1:240
	v_add_u32_e32 v20, 0x1400, v150
	v_add_u32_e32 v4, 0x2280, v150
	ds_read2_b64 v[4:7], v4 offset0:14 offset1:248
	ds_read2_b64 v[20:23], v20 offset0:10 offset1:244
	ds_read_b64 v[64:65], v150 offset:12688
	s_waitcnt lgkmcnt(1)
	v_mov_b64_e32 v[50:51], v[22:23]
.LBB0_27:
	s_or_b64 exec, exec, s[2:3]
	v_lshrrev_b16_e32 v22, 1, v72
	v_and_b32_e32 v22, 0x7f, v22
	v_lshrrev_b16_e32 v23, 1, v88
	v_mul_u32_u24_e32 v23, 0x6907, v23
	v_mul_lo_u16_e32 v22, 0xd3, v22
	v_lshrrev_b32_e32 v23, 20, v23
	v_lshrrev_b16_e32 v138, 13, v22
	v_mul_lo_u16_e32 v23, 0x4e, v23
	v_mul_lo_u16_e32 v22, 0x4e, v138
	v_sub_u16_e32 v89, v88, v23
	v_sub_u16_e32 v139, v72, v22
	v_mov_b32_e32 v22, 6
	v_mul_u32_u24_e32 v23, 6, v89
	v_mul_u32_u24_sdwa v22, v139, v22 dst_sel:DWORD dst_unused:UNUSED_PAD src0_sel:BYTE_0 src1_sel:DWORD
	v_lshlrev_b32_e32 v23, 4, v23
	v_lshlrev_b32_e32 v22, 4, v22
	global_load_dwordx4 v[90:93], v23, s[4:5] offset:1056
	global_load_dwordx4 v[94:97], v23, s[4:5] offset:1040
	;; [unrolled: 1-line block ×12, first 2 shown]
	s_mov_b32 s6, 0x37e14327
	s_mov_b32 s2, 0x36b3c0b5
	;; [unrolled: 1-line block ×20, first 2 shown]
	s_waitcnt lgkmcnt(0)
	s_barrier
	s_waitcnt vmcnt(5)
	v_mul_f64 v[76:77], v[30:31], v[116:117]
	v_mul_f64 v[68:69], v[20:21], v[92:93]
	;; [unrolled: 1-line block ×14, first 2 shown]
	s_waitcnt vmcnt(4)
	v_mul_f64 v[112:113], v[44:45], v[120:121]
	v_mul_f64 v[78:79], v[36:37], v[120:121]
	s_waitcnt vmcnt(3)
	v_mul_f64 v[116:117], v[46:47], v[124:125]
	v_mul_f64 v[80:81], v[38:39], v[124:125]
	;; [unrolled: 3-line block ×3, first 2 shown]
	s_waitcnt vmcnt(1)
	v_mul_f64 v[124:125], v[42:43], v[132:133]
	s_waitcnt vmcnt(0)
	v_mul_f64 v[128:129], v[18:19], v[136:137]
	v_mul_f64 v[84:85], v[34:35], v[132:133]
	v_fma_f64 v[66:67], v[14:15], v[94:95], -v[66:67]
	v_fmac_f64_e32 v[22:23], v[10:11], v[94:95]
	v_fmac_f64_e32 v[54:55], v[20:21], v[90:91]
	v_fma_f64 v[20:21], v[74:75], v[102:103], -v[92:93]
	v_fmac_f64_e32 v[56:57], v[50:51], v[102:103]
	v_fma_f64 v[50:51], v[0:1], v[98:99], -v[96:97]
	v_fma_f64 v[74:75], v[2:3], v[110:111], -v[100:101]
	;; [unrolled: 1-line block ×6, first 2 shown]
	v_mul_f64 v[86:87], v[48:49], v[136:137]
	v_fma_f64 v[68:69], v[16:17], v[90:91], -v[68:69]
	v_fmac_f64_e32 v[58:59], v[4:5], v[98:99]
	v_fmac_f64_e32 v[60:61], v[6:7], v[110:111]
	;; [unrolled: 1-line block ×4, first 2 shown]
	v_fma_f64 v[4:5], v[38:39], v[122:123], -v[116:117]
	v_fmac_f64_e32 v[80:81], v[46:47], v[122:123]
	v_fma_f64 v[6:7], v[32:33], v[126:127], -v[120:121]
	v_fmac_f64_e32 v[82:83], v[40:41], v[126:127]
	v_fmac_f64_e32 v[84:85], v[42:43], v[130:131]
	v_add_f64 v[16:17], v[0:1], v[14:15]
	v_add_f64 v[26:27], v[2:3], v[10:11]
	v_fmac_f64_e32 v[86:87], v[18:19], v[134:135]
	v_add_f64 v[30:31], v[78:79], -v[84:85]
	v_add_f64 v[32:33], v[4:5], v[6:7]
	v_add_f64 v[34:35], v[82:83], -v[80:81]
	v_add_f64 v[36:37], v[26:27], v[16:17]
	v_add_f64 v[18:19], v[76:77], -v[86:87]
	v_add_f64 v[38:39], v[26:27], -v[16:17]
	;; [unrolled: 1-line block ×4, first 2 shown]
	v_add_f64 v[40:41], v[34:35], v[30:31]
	v_add_f64 v[42:43], v[34:35], -v[30:31]
	v_add_f64 v[32:33], v[32:33], v[36:37]
	v_add_f64 v[34:35], v[18:19], -v[34:35]
	v_add_f64 v[30:31], v[30:31], -v[18:19]
	v_add_f64 v[18:19], v[40:41], v[18:19]
	v_add_f64 v[28:29], v[28:29], v[32:33]
	v_mul_f64 v[16:17], v[16:17], s[6:7]
	v_mul_f64 v[36:37], v[26:27], s[2:3]
	;; [unrolled: 1-line block ×4, first 2 shown]
	v_fma_f64 v[32:33], s[12:13], v[32:33], v[28:29]
	v_fma_f64 v[36:37], v[38:39], s[14:15], -v[36:37]
	v_fma_f64 v[38:39], v[38:39], s[16:17], -v[16:17]
	v_fmac_f64_e32 v[16:17], s[2:3], v[26:27]
	v_fma_f64 v[26:27], v[30:31], s[8:9], -v[40:41]
	v_fmac_f64_e32 v[40:41], s[18:19], v[34:35]
	v_fma_f64 v[30:31], v[34:35], s[22:23], -v[42:43]
	v_add_f64 v[34:35], v[36:37], v[32:33]
	v_fmac_f64_e32 v[26:27], s[20:21], v[18:19]
	v_add_f64 v[16:17], v[16:17], v[32:33]
	v_add_f64 v[32:33], v[38:39], v[32:33]
	v_add_f64 v[38:39], v[34:35], -v[26:27]
	v_add_f64 v[34:35], v[26:27], v[34:35]
	v_mov_b32_e32 v27, 3
	v_fmac_f64_e32 v[40:41], s[20:21], v[18:19]
	v_mul_u32_u24_e32 v26, 0x1110, v138
	v_lshlrev_b32_sdwa v27, v27, v139 dst_sel:DWORD dst_unused:UNUSED_PAD src0_sel:DWORD src1_sel:BYTE_0
	v_fmac_f64_e32 v[30:31], s[20:21], v[18:19]
	v_add_f64 v[18:19], v[40:41], v[16:17]
	v_add3_u32 v27, 0, v26, v27
	v_fma_f64 v[52:53], v[52:53], v[106:107], -v[104:105]
	v_fmac_f64_e32 v[62:63], v[64:65], v[106:107]
	v_add_f64 v[36:37], v[30:31], v[32:33]
	v_add_f64 v[30:31], v[32:33], -v[30:31]
	ds_write2_b64 v27, v[28:29], v[18:19] offset1:78
	ds_write2_b64 v27, v[36:37], v[38:39] offset0:156 offset1:234
	v_add_u32_e32 v28, 0x800, v27
	v_lshl_add_u32 v26, v89, 3, 0
	v_add_f64 v[16:17], v[16:17], -v[40:41]
	ds_write2_b64 v28, v[34:35], v[30:31] offset0:56 offset1:134
	ds_write_b64 v27, v[16:17] offset:3744
	s_and_saveexec_b64 s[24:25], s[0:1]
	s_cbranch_execz .LBB0_29
; %bb.28:
	v_add_f64 v[18:19], v[68:69], v[74:75]
	v_add_f64 v[34:35], v[66:67], v[52:53]
	;; [unrolled: 1-line block ×4, first 2 shown]
	v_add_f64 v[30:31], v[16:17], -v[18:19]
	v_add_f64 v[36:37], v[34:35], -v[16:17]
	v_add_f64 v[16:17], v[16:17], v[38:39]
	v_add_f64 v[38:39], v[58:59], -v[56:57]
	v_add_f64 v[40:41], v[54:55], -v[60:61]
	v_mul_f64 v[36:37], v[36:37], s[6:7]
	v_add_f64 v[44:45], v[22:23], -v[62:63]
	v_add_f64 v[46:47], v[38:39], -v[40:41]
	;; [unrolled: 1-line block ×3, first 2 shown]
	v_mul_f64 v[32:33], v[30:31], s[2:3]
	v_fma_f64 v[30:31], s[2:3], v[30:31], v[36:37]
	v_add_f64 v[12:13], v[12:13], v[16:17]
	v_add_f64 v[42:43], v[38:39], v[40:41]
	v_mul_f64 v[46:47], v[46:47], s[10:11]
	v_add_f64 v[38:39], v[44:45], -v[38:39]
	v_fma_f64 v[34:35], v[18:19], s[16:17], -v[36:37]
	v_add_f64 v[36:37], v[40:41], -v[44:45]
	v_fma_f64 v[16:17], s[12:13], v[16:17], v[12:13]
	v_add_f64 v[42:43], v[42:43], v[44:45]
	v_fma_f64 v[48:49], s[18:19], v[38:39], v[46:47]
	v_mul_f64 v[40:41], v[36:37], s[8:9]
	v_add_f64 v[30:31], v[30:31], v[16:17]
	v_fmac_f64_e32 v[48:49], s[20:21], v[42:43]
	v_fma_f64 v[38:39], v[38:39], s[22:23], -v[40:41]
	v_fma_f64 v[36:37], v[36:37], s[8:9], -v[46:47]
	;; [unrolled: 1-line block ×3, first 2 shown]
	v_add_f64 v[64:65], v[30:31], -v[48:49]
	v_add_f64 v[34:35], v[34:35], v[16:17]
	v_fmac_f64_e32 v[38:39], s[20:21], v[42:43]
	v_fmac_f64_e32 v[36:37], s[20:21], v[42:43]
	v_add_f64 v[16:17], v[18:19], v[16:17]
	v_add_f64 v[30:31], v[48:49], v[30:31]
	v_add_u32_e32 v29, 0x2000, v26
	v_add_f64 v[18:19], v[36:37], v[16:17]
	v_add_f64 v[16:17], v[16:17], -v[36:37]
	v_add_f64 v[32:33], v[38:39], v[34:35]
	ds_write2_b64 v29, v[12:13], v[30:31] offset0:68 offset1:146
	v_add_u32_e32 v12, 0x2400, v26
	v_add_f64 v[40:41], v[34:35], -v[38:39]
	ds_write2_b64 v12, v[32:33], v[16:17] offset0:96 offset1:174
	v_add_u32_e32 v12, 0x2800, v26
	ds_write2_b64 v12, v[18:19], v[40:41] offset0:124 offset1:202
	ds_write_b64 v26, v[64:65] offset:12480
.LBB0_29:
	s_or_b64 exec, exec, s[24:25]
	v_add_f64 v[12:13], v[76:77], v[86:87]
	v_add_f64 v[0:1], v[0:1], -v[14:15]
	v_add_f64 v[14:15], v[78:79], v[84:85]
	v_add_f64 v[2:3], v[2:3], -v[10:11]
	;; [unrolled: 2-line block ×4, first 2 shown]
	v_add_f64 v[12:13], v[12:13], -v[10:11]
	v_add_f64 v[14:15], v[10:11], -v[14:15]
	v_add_f64 v[18:19], v[4:5], v[2:3]
	v_add_f64 v[30:31], v[4:5], -v[2:3]
	v_add_f64 v[2:3], v[2:3], -v[0:1]
	v_add_f64 v[6:7], v[10:11], v[6:7]
	v_add_f64 v[4:5], v[0:1], -v[4:5]
	v_add_f64 v[0:1], v[18:19], v[0:1]
	v_add_f64 v[24:25], v[24:25], v[6:7]
	v_mul_f64 v[10:11], v[12:13], s[6:7]
	v_mul_f64 v[12:13], v[14:15], s[2:3]
	;; [unrolled: 1-line block ×4, first 2 shown]
	v_fma_f64 v[6:7], s[12:13], v[6:7], v[24:25]
	v_fma_f64 v[12:13], v[16:17], s[14:15], -v[12:13]
	v_fma_f64 v[16:17], v[16:17], s[16:17], -v[10:11]
	v_fmac_f64_e32 v[10:11], s[2:3], v[14:15]
	v_fma_f64 v[2:3], v[2:3], s[8:9], -v[18:19]
	v_fmac_f64_e32 v[18:19], s[18:19], v[4:5]
	v_fma_f64 v[4:5], v[4:5], s[22:23], -v[30:31]
	v_add_f64 v[10:11], v[10:11], v[6:7]
	v_add_f64 v[12:13], v[12:13], v[6:7]
	;; [unrolled: 1-line block ×3, first 2 shown]
	v_fmac_f64_e32 v[18:19], s[20:21], v[0:1]
	v_fmac_f64_e32 v[4:5], s[20:21], v[0:1]
	;; [unrolled: 1-line block ×3, first 2 shown]
	v_add_f64 v[30:31], v[10:11], -v[18:19]
	v_add_f64 v[32:33], v[6:7], -v[4:5]
	v_add_f64 v[38:39], v[4:5], v[6:7]
	v_add_f64 v[40:41], v[18:19], v[10:11]
	v_add_u32_e32 v4, 0x2000, v150
	v_add_u32_e32 v10, 0x1600, v150
	v_add_f64 v[34:35], v[2:3], v[12:13]
	v_add_f64 v[36:37], v[12:13], -v[2:3]
	s_waitcnt lgkmcnt(0)
	s_barrier
	ds_read2_b64 v[0:3], v150 offset1:182
	ds_read2_b64 v[4:7], v4 offset0:68 offset1:250
	ds_read2_b64 v[10:13], v10 offset0:24 offset1:206
	ds_read_b64 v[14:15], v73
	ds_read_b64 v[16:17], v151
	ds_read_b64 v[18:19], v150 offset:11648
	s_waitcnt lgkmcnt(0)
	s_barrier
	ds_write2_b64 v27, v[24:25], v[30:31] offset1:78
	ds_write2_b64 v27, v[32:33], v[34:35] offset0:156 offset1:234
	ds_write2_b64 v28, v[36:37], v[38:39] offset0:56 offset1:134
	ds_write_b64 v27, v[40:41] offset:3744
	s_and_saveexec_b64 s[2:3], s[0:1]
	s_cbranch_execz .LBB0_31
; %bb.30:
	v_add_f64 v[22:23], v[22:23], v[62:63]
	v_add_f64 v[28:29], v[54:55], v[60:61]
	;; [unrolled: 1-line block ×3, first 2 shown]
	s_mov_b32 s0, 0x37e14327
	v_add_f64 v[34:35], v[28:29], v[22:23]
	v_add_f64 v[36:37], v[28:29], -v[22:23]
	v_add_f64 v[22:23], v[22:23], -v[32:33]
	s_mov_b32 s1, 0x3fe948f6
	v_add_f64 v[28:29], v[32:33], -v[28:29]
	v_add_f64 v[32:33], v[32:33], v[34:35]
	v_mul_f64 v[22:23], v[22:23], s[0:1]
	s_mov_b32 s0, 0x36b3c0b5
	s_mov_b32 s8, 0xaaaaaaaa
	v_add_f64 v[30:31], v[68:69], -v[74:75]
	v_add_f64 v[20:21], v[50:51], -v[20:21]
	v_add_f64 v[8:9], v[8:9], v[32:33]
	s_mov_b32 s1, 0x3fac98ee
	s_mov_b32 s6, 0xe976ee23
	s_mov_b32 s9, 0xbff2aaaa
	v_add_f64 v[24:25], v[66:67], -v[52:53]
	v_add_f64 v[38:39], v[20:21], v[30:31]
	v_add_f64 v[40:41], v[20:21], -v[30:31]
	v_mul_f64 v[34:35], v[28:29], s[0:1]
	s_mov_b32 s7, 0xbfe11646
	v_fma_f64 v[32:33], s[8:9], v[32:33], v[8:9]
	s_mov_b32 s9, 0x3fe77f67
	s_mov_b32 s8, 0x5476071b
	v_add_f64 v[20:21], v[24:25], -v[20:21]
	v_add_f64 v[30:31], v[30:31], -v[24:25]
	v_add_f64 v[24:25], v[38:39], v[24:25]
	v_mul_f64 v[38:39], v[40:41], s[6:7]
	s_mov_b32 s6, 0x429ad128
	v_fma_f64 v[34:35], v[36:37], s[8:9], -v[34:35]
	s_mov_b32 s9, 0xbfe77f67
	s_mov_b32 s7, 0x3febfeb5
	v_fma_f64 v[36:37], v[36:37], s[8:9], -v[22:23]
	v_fmac_f64_e32 v[22:23], s[0:1], v[28:29]
	s_mov_b32 s1, 0x3fd5d0dc
	s_mov_b32 s0, 0xb247c609
	v_mul_f64 v[40:41], v[30:31], s[6:7]
	v_fma_f64 v[28:29], v[30:31], s[6:7], -v[38:39]
	v_fmac_f64_e32 v[38:39], s[0:1], v[20:21]
	s_mov_b32 s1, 0xbfd5d0dc
	v_fma_f64 v[20:21], v[20:21], s[0:1], -v[40:41]
	s_mov_b32 s0, 0x37c3f68c
	s_mov_b32 s1, 0x3fdc38aa
	v_add_f64 v[22:23], v[22:23], v[32:33]
	v_fmac_f64_e32 v[38:39], s[0:1], v[24:25]
	v_add_f64 v[30:31], v[34:35], v[32:33]
	v_add_f64 v[32:33], v[36:37], v[32:33]
	v_fmac_f64_e32 v[28:29], s[0:1], v[24:25]
	v_fmac_f64_e32 v[20:21], s[0:1], v[24:25]
	v_add_f64 v[24:25], v[22:23], -v[38:39]
	v_add_u32_e32 v27, 0x2000, v26
	v_add_f64 v[34:35], v[32:33], -v[20:21]
	v_add_f64 v[36:37], v[28:29], v[30:31]
	ds_write2_b64 v27, v[8:9], v[24:25] offset0:68 offset1:146
	v_add_u32_e32 v8, 0x2400, v26
	v_add_f64 v[28:29], v[30:31], -v[28:29]
	v_add_f64 v[20:21], v[20:21], v[32:33]
	ds_write2_b64 v8, v[34:35], v[36:37] offset0:96 offset1:174
	v_add_u32_e32 v8, 0x2800, v26
	v_add_f64 v[22:23], v[38:39], v[22:23]
	ds_write2_b64 v8, v[28:29], v[20:21] offset0:124 offset1:202
	ds_write_b64 v26, v[22:23] offset:12480
.LBB0_31:
	s_or_b64 exec, exec, s[2:3]
	s_waitcnt lgkmcnt(0)
	s_barrier
	s_and_saveexec_b64 s[0:1], vcc
	s_cbranch_execz .LBB0_33
; %bb.32:
	v_lshlrev_b32_e32 v8, 1, v152
	v_mov_b32_e32 v9, 0
	v_lshl_add_u64 v[20:21], v[8:9], 4, s[4:5]
	s_mov_b64 s[0:1], 0x2150
	v_add_co_u32_e32 v30, vcc, 0x2000, v20
	v_lshl_add_u64 v[28:29], v[20:21], 0, s[0:1]
	s_nop 0
	v_addc_co_u32_e32 v31, vcc, 0, v21, vcc
	v_lshlrev_b32_e32 v8, 1, v88
	s_movk_i32 s2, 0x2000
	global_load_dwordx4 v[20:23], v[30:31], off offset:336
	global_load_dwordx4 v[24:27], v[28:29], off offset:16
	v_lshl_add_u64 v[28:29], v[8:9], 4, s[4:5]
	v_add_co_u32_e32 v38, vcc, s2, v28
	v_lshlrev_b32_e32 v8, 1, v72
	v_lshl_add_u64 v[36:37], v[28:29], 0, s[0:1]
	v_addc_co_u32_e32 v39, vcc, 0, v29, vcc
	v_lshl_add_u64 v[40:41], v[8:9], 4, s[4:5]
	global_load_dwordx4 v[28:31], v[38:39], off offset:336
	global_load_dwordx4 v[32:35], v[36:37], off offset:16
	v_add_co_u32_e32 v36, vcc, s2, v40
	v_add_u32_e32 v52, 0x2000, v150
	s_nop 0
	v_addc_co_u32_e32 v37, vcc, 0, v41, vcc
	global_load_dwordx4 v[36:39], v[36:37], off offset:336
	v_lshl_add_u64 v[40:41], v[40:41], 0, s[0:1]
	global_load_dwordx4 v[40:43], v[40:41], off offset:16
	v_add_u32_e32 v8, 0x1600, v150
	ds_read2_b64 v[44:47], v150 offset1:182
	ds_read2_b64 v[48:51], v8 offset0:24 offset1:206
	ds_read_b64 v[56:57], v150 offset:11648
	ds_read_b64 v[58:59], v151
	ds_read_b64 v[60:61], v73
	ds_read2_b64 v[52:55], v52 offset0:68 offset1:250
	s_mov_b32 s0, 0xe8584caa
	s_mov_b32 s1, 0x3febb67a
	;; [unrolled: 1-line block ×4, first 2 shown]
	v_mov_b32_e32 v73, v9
	s_waitcnt vmcnt(5) lgkmcnt(4)
	v_mul_f64 v[62:63], v[50:51], v[22:23]
	s_waitcnt vmcnt(4) lgkmcnt(3)
	v_mul_f64 v[64:65], v[56:57], v[26:27]
	v_mul_f64 v[22:23], v[12:13], v[22:23]
	;; [unrolled: 1-line block ×3, first 2 shown]
	v_fma_f64 v[12:13], v[12:13], v[20:21], -v[62:63]
	v_fma_f64 v[62:63], v[18:19], v[24:25], -v[64:65]
	v_fmac_f64_e32 v[26:27], v[24:25], v[56:57]
	v_add_f64 v[24:25], v[12:13], v[62:63]
	v_fmac_f64_e32 v[22:23], v[20:21], v[50:51]
	s_waitcnt vmcnt(3)
	v_mul_f64 v[66:67], v[48:49], v[30:31]
	s_waitcnt vmcnt(2) lgkmcnt(0)
	v_mul_f64 v[68:69], v[54:55], v[34:35]
	v_mul_f64 v[30:31], v[10:11], v[30:31]
	;; [unrolled: 1-line block ×3, first 2 shown]
	v_fma_f64 v[10:11], v[10:11], v[28:29], -v[66:67]
	v_fmac_f64_e32 v[30:31], v[28:29], v[48:49]
	v_fmac_f64_e32 v[34:35], v[32:33], v[54:55]
	v_fma_f64 v[6:7], v[6:7], v[32:33], -v[68:69]
	s_waitcnt vmcnt(1)
	v_mul_f64 v[48:49], v[60:61], v[38:39]
	v_add_f64 v[54:55], v[30:31], v[34:35]
	v_add_f64 v[56:57], v[30:31], v[46:47]
	v_add_f64 v[66:67], v[30:31], -v[34:35]
	v_add_f64 v[30:31], v[2:3], v[10:11]
	v_add_f64 v[50:51], v[10:11], -v[6:7]
	v_add_f64 v[64:65], v[10:11], v[6:7]
	v_fma_f64 v[10:11], -0.5, v[24:25], v[16:17]
	v_add_f64 v[24:25], v[30:31], v[6:7]
	v_fma_f64 v[6:7], v[14:15], v[36:37], -v[48:49]
	v_mul_f64 v[14:15], v[14:15], v[38:39]
	v_add_f64 v[18:19], v[22:23], v[26:27]
	v_add_f64 v[20:21], v[22:23], v[58:59]
	v_fmac_f64_e32 v[14:15], v[36:37], v[60:61]
	s_waitcnt vmcnt(0)
	v_mul_f64 v[36:37], v[4:5], v[42:43]
	v_add_f64 v[28:29], v[12:13], -v[62:63]
	v_add_f64 v[32:33], v[22:23], -v[26:27]
	v_add_f64 v[22:23], v[16:17], v[12:13]
	v_fma_f64 v[12:13], -0.5, v[18:19], v[58:59]
	v_add_f64 v[18:19], v[26:27], v[20:21]
	v_fma_f64 v[20:21], -0.5, v[64:65], v[2:3]
	v_mul_f64 v[2:3], v[52:53], v[42:43]
	v_fmac_f64_e32 v[36:37], v[40:41], v[52:53]
	v_add_f64 v[16:17], v[22:23], v[62:63]
	v_fma_f64 v[22:23], -0.5, v[54:55], v[46:47]
	v_fma_f64 v[46:47], v[4:5], v[40:41], -v[2:3]
	v_add_f64 v[4:5], v[14:15], v[36:37]
	v_add_f64 v[2:3], v[6:7], -v[46:47]
	v_fma_f64 v[4:5], -0.5, v[4:5], v[44:45]
	v_fma_f64 v[38:39], s[0:1], v[2:3], v[4:5]
	v_fmac_f64_e32 v[4:5], s[4:5], v[2:3]
	v_add_f64 v[2:3], v[14:15], v[44:45]
	v_add_f64 v[42:43], v[2:3], v[36:37]
	;; [unrolled: 1-line block ×3, first 2 shown]
	v_fma_f64 v[2:3], -0.5, v[2:3], v[0:1]
	v_add_f64 v[0:1], v[0:1], v[6:7]
	v_add_f64 v[40:41], v[0:1], v[46:47]
	v_lshl_add_u64 v[0:1], v[72:73], 4, v[70:71]
	v_add_f64 v[14:15], v[14:15], -v[36:37]
	v_add_co_u32_e32 v6, vcc, s2, v0
	v_add_f64 v[26:27], v[34:35], v[56:57]
	v_fma_f64 v[30:31], s[0:1], v[28:29], v[12:13]
	v_fmac_f64_e32 v[12:13], s[4:5], v[28:29]
	v_fma_f64 v[28:29], s[4:5], v[32:33], v[10:11]
	v_fmac_f64_e32 v[10:11], s[0:1], v[32:33]
	v_fma_f64 v[34:35], s[0:1], v[50:51], v[22:23]
	v_fma_f64 v[32:33], s[4:5], v[66:67], v[20:21]
	v_fmac_f64_e32 v[20:21], s[0:1], v[66:67]
	v_fma_f64 v[36:37], s[4:5], v[14:15], v[2:3]
	v_fmac_f64_e32 v[2:3], s[0:1], v[14:15]
	v_addc_co_u32_e32 v7, vcc, 0, v1, vcc
	s_movk_i32 s0, 0x4000
	global_store_dwordx4 v[6:7], v[2:5], off offset:544
	v_fmac_f64_e32 v[22:23], s[4:5], v[50:51]
	global_store_dwordx4 v[0:1], v[40:43], off
	v_add_co_u32_e32 v2, vcc, s0, v0
	s_mov_b32 s0, 0xf00f00f1
	s_nop 0
	v_addc_co_u32_e32 v3, vcc, 0, v1, vcc
	global_store_dwordx4 v[2:3], v[36:39], off offset:1088
	global_store_dwordx4 v[0:1], v[24:27], off offset:2912
	;; [unrolled: 1-line block ×4, first 2 shown]
	v_add_u32_e32 v0, 0x16c, v72
	v_lshrrev_b32_e32 v1, 1, v0
	v_mul_hi_u32 v1, v1, s0
	v_lshrrev_b32_e32 v1, 8, v1
	s_movk_i32 s0, 0x444
	v_mad_u32_u24 v8, v1, s0, v0
	v_lshl_add_u64 v[0:1], v[8:9], 4, v[70:71]
	v_add_co_u32_e32 v2, vcc, 0x2000, v0
	global_store_dwordx4 v[0:1], v[16:19], off
	s_nop 0
	v_addc_co_u32_e32 v3, vcc, 0, v1, vcc
	v_add_co_u32_e32 v0, vcc, 0x4000, v0
	global_store_dwordx4 v[2:3], v[10:13], off offset:544
	s_nop 0
	v_addc_co_u32_e32 v1, vcc, 0, v1, vcc
	global_store_dwordx4 v[0:1], v[28:31], off offset:1088
.LBB0_33:
	s_endpgm
	.section	.rodata,"a",@progbits
	.p2align	6, 0x0
	.amdhsa_kernel fft_rtc_fwd_len1638_factors_13_2_3_7_3_wgs_182_tpt_182_halfLds_dp_ip_CI_unitstride_sbrr_dirReg
		.amdhsa_group_segment_fixed_size 0
		.amdhsa_private_segment_fixed_size 0
		.amdhsa_kernarg_size 88
		.amdhsa_user_sgpr_count 2
		.amdhsa_user_sgpr_dispatch_ptr 0
		.amdhsa_user_sgpr_queue_ptr 0
		.amdhsa_user_sgpr_kernarg_segment_ptr 1
		.amdhsa_user_sgpr_dispatch_id 0
		.amdhsa_user_sgpr_kernarg_preload_length 0
		.amdhsa_user_sgpr_kernarg_preload_offset 0
		.amdhsa_user_sgpr_private_segment_size 0
		.amdhsa_uses_dynamic_stack 0
		.amdhsa_enable_private_segment 0
		.amdhsa_system_sgpr_workgroup_id_x 1
		.amdhsa_system_sgpr_workgroup_id_y 0
		.amdhsa_system_sgpr_workgroup_id_z 0
		.amdhsa_system_sgpr_workgroup_info 0
		.amdhsa_system_vgpr_workitem_id 0
		.amdhsa_next_free_vgpr 184
		.amdhsa_next_free_sgpr 44
		.amdhsa_accum_offset 184
		.amdhsa_reserve_vcc 1
		.amdhsa_float_round_mode_32 0
		.amdhsa_float_round_mode_16_64 0
		.amdhsa_float_denorm_mode_32 3
		.amdhsa_float_denorm_mode_16_64 3
		.amdhsa_dx10_clamp 1
		.amdhsa_ieee_mode 1
		.amdhsa_fp16_overflow 0
		.amdhsa_tg_split 0
		.amdhsa_exception_fp_ieee_invalid_op 0
		.amdhsa_exception_fp_denorm_src 0
		.amdhsa_exception_fp_ieee_div_zero 0
		.amdhsa_exception_fp_ieee_overflow 0
		.amdhsa_exception_fp_ieee_underflow 0
		.amdhsa_exception_fp_ieee_inexact 0
		.amdhsa_exception_int_div_zero 0
	.end_amdhsa_kernel
	.text
.Lfunc_end0:
	.size	fft_rtc_fwd_len1638_factors_13_2_3_7_3_wgs_182_tpt_182_halfLds_dp_ip_CI_unitstride_sbrr_dirReg, .Lfunc_end0-fft_rtc_fwd_len1638_factors_13_2_3_7_3_wgs_182_tpt_182_halfLds_dp_ip_CI_unitstride_sbrr_dirReg
                                        ; -- End function
	.section	.AMDGPU.csdata,"",@progbits
; Kernel info:
; codeLenInByte = 11448
; NumSgprs: 50
; NumVgprs: 184
; NumAgprs: 0
; TotalNumVgprs: 184
; ScratchSize: 0
; MemoryBound: 1
; FloatMode: 240
; IeeeMode: 1
; LDSByteSize: 0 bytes/workgroup (compile time only)
; SGPRBlocks: 6
; VGPRBlocks: 22
; NumSGPRsForWavesPerEU: 50
; NumVGPRsForWavesPerEU: 184
; AccumOffset: 184
; Occupancy: 2
; WaveLimiterHint : 1
; COMPUTE_PGM_RSRC2:SCRATCH_EN: 0
; COMPUTE_PGM_RSRC2:USER_SGPR: 2
; COMPUTE_PGM_RSRC2:TRAP_HANDLER: 0
; COMPUTE_PGM_RSRC2:TGID_X_EN: 1
; COMPUTE_PGM_RSRC2:TGID_Y_EN: 0
; COMPUTE_PGM_RSRC2:TGID_Z_EN: 0
; COMPUTE_PGM_RSRC2:TIDIG_COMP_CNT: 0
; COMPUTE_PGM_RSRC3_GFX90A:ACCUM_OFFSET: 45
; COMPUTE_PGM_RSRC3_GFX90A:TG_SPLIT: 0
	.text
	.p2alignl 6, 3212836864
	.fill 256, 4, 3212836864
	.type	__hip_cuid_d62ab8635557e44d,@object ; @__hip_cuid_d62ab8635557e44d
	.section	.bss,"aw",@nobits
	.globl	__hip_cuid_d62ab8635557e44d
__hip_cuid_d62ab8635557e44d:
	.byte	0                               ; 0x0
	.size	__hip_cuid_d62ab8635557e44d, 1

	.ident	"AMD clang version 19.0.0git (https://github.com/RadeonOpenCompute/llvm-project roc-6.4.0 25133 c7fe45cf4b819c5991fe208aaa96edf142730f1d)"
	.section	".note.GNU-stack","",@progbits
	.addrsig
	.addrsig_sym __hip_cuid_d62ab8635557e44d
	.amdgpu_metadata
---
amdhsa.kernels:
  - .agpr_count:     0
    .args:
      - .actual_access:  read_only
        .address_space:  global
        .offset:         0
        .size:           8
        .value_kind:     global_buffer
      - .offset:         8
        .size:           8
        .value_kind:     by_value
      - .actual_access:  read_only
        .address_space:  global
        .offset:         16
        .size:           8
        .value_kind:     global_buffer
      - .actual_access:  read_only
        .address_space:  global
        .offset:         24
        .size:           8
        .value_kind:     global_buffer
      - .offset:         32
        .size:           8
        .value_kind:     by_value
      - .actual_access:  read_only
        .address_space:  global
        .offset:         40
        .size:           8
        .value_kind:     global_buffer
      - .actual_access:  read_only
        .address_space:  global
        .offset:         48
        .size:           8
        .value_kind:     global_buffer
      - .offset:         56
        .size:           4
        .value_kind:     by_value
      - .actual_access:  read_only
        .address_space:  global
        .offset:         64
        .size:           8
        .value_kind:     global_buffer
      - .actual_access:  read_only
        .address_space:  global
        .offset:         72
        .size:           8
        .value_kind:     global_buffer
      - .address_space:  global
        .offset:         80
        .size:           8
        .value_kind:     global_buffer
    .group_segment_fixed_size: 0
    .kernarg_segment_align: 8
    .kernarg_segment_size: 88
    .language:       OpenCL C
    .language_version:
      - 2
      - 0
    .max_flat_workgroup_size: 182
    .name:           fft_rtc_fwd_len1638_factors_13_2_3_7_3_wgs_182_tpt_182_halfLds_dp_ip_CI_unitstride_sbrr_dirReg
    .private_segment_fixed_size: 0
    .sgpr_count:     50
    .sgpr_spill_count: 0
    .symbol:         fft_rtc_fwd_len1638_factors_13_2_3_7_3_wgs_182_tpt_182_halfLds_dp_ip_CI_unitstride_sbrr_dirReg.kd
    .uniform_work_group_size: 1
    .uses_dynamic_stack: false
    .vgpr_count:     184
    .vgpr_spill_count: 0
    .wavefront_size: 64
amdhsa.target:   amdgcn-amd-amdhsa--gfx950
amdhsa.version:
  - 1
  - 2
...

	.end_amdgpu_metadata
